;; amdgpu-corpus repo=ROCm/rocSPARSE kind=compiled arch=gfx1250 opt=O3
	.amdgcn_target "amdgcn-amd-amdhsa--gfx1250"
	.amdhsa_code_object_version 6
	.section	.text._ZN9rocsparseL19kernel_ptr_end_unitILj1024EiiEEvT1_PKT0_PKS1_PS2_21rocsparse_index_base_,"axG",@progbits,_ZN9rocsparseL19kernel_ptr_end_unitILj1024EiiEEvT1_PKT0_PKS1_PS2_21rocsparse_index_base_,comdat
	.globl	_ZN9rocsparseL19kernel_ptr_end_unitILj1024EiiEEvT1_PKT0_PKS1_PS2_21rocsparse_index_base_ ; -- Begin function _ZN9rocsparseL19kernel_ptr_end_unitILj1024EiiEEvT1_PKT0_PKS1_PS2_21rocsparse_index_base_
	.p2align	8
	.type	_ZN9rocsparseL19kernel_ptr_end_unitILj1024EiiEEvT1_PKT0_PKS1_PS2_21rocsparse_index_base_,@function
_ZN9rocsparseL19kernel_ptr_end_unitILj1024EiiEEvT1_PKT0_PKS1_PS2_21rocsparse_index_base_: ; @_ZN9rocsparseL19kernel_ptr_end_unitILj1024EiiEEvT1_PKT0_PKS1_PS2_21rocsparse_index_base_
; %bb.0:
	s_load_b32 s2, s[0:1], 0x0
	s_bfe_u32 s3, ttmp6, 0x4000c
	s_and_b32 s4, ttmp6, 15
	s_add_co_i32 s3, s3, 1
	s_getreg_b32 s5, hwreg(HW_REG_IB_STS2, 6, 4)
	s_mul_i32 s3, ttmp9, s3
	s_delay_alu instid0(SALU_CYCLE_1) | instskip(SKIP_2) | instid1(SALU_CYCLE_1)
	s_add_co_i32 s4, s4, s3
	s_cmp_eq_u32 s5, 0
	s_cselect_b32 s3, ttmp9, s4
	v_lshl_or_b32 v0, s3, 10, v0
	s_wait_kmcnt 0x0
	s_delay_alu instid0(VALU_DEP_1)
	v_cmp_gt_i32_e32 vcc_lo, s2, v0
	s_and_saveexec_b32 s2, vcc_lo
	s_cbranch_execz .LBB0_8
; %bb.1:
	s_clause 0x1
	s_load_b64 s[4:5], s[0:1], 0x8
	s_load_b64 s[2:3], s[0:1], 0x18
	v_ashrrev_i32_e32 v1, 31, v0
	s_delay_alu instid0(VALU_DEP_1) | instskip(SKIP_1) | instid1(VALU_DEP_1)
	v_lshlrev_b64_e32 v[2:3], 2, v[0:1]
	s_wait_kmcnt 0x0
	v_add_nc_u64_e32 v[4:5], s[4:5], v[2:3]
	global_load_b64 v[4:5], v[4:5], off
	s_wait_loadcnt 0x0
	v_cmp_lt_i32_e32 vcc_lo, v4, v5
	global_store_b32 v0, v5, s[2:3] scale_offset
	s_wait_xcnt 0x0
	s_and_b32 exec_lo, exec_lo, vcc_lo
	s_cbranch_execz .LBB0_8
; %bb.2:
	s_clause 0x1
	s_load_b32 s4, s[0:1], 0x20
	s_load_b64 s[6:7], s[0:1], 0x10
	v_add_nc_u64_e32 v[2:3], s[2:3], v[2:3]
	s_wait_xcnt 0x0
	s_mov_b32 s0, 0
                                        ; implicit-def: $sgpr1
                                        ; implicit-def: $sgpr3
                                        ; implicit-def: $sgpr2
	s_wait_kmcnt 0x0
	v_subrev_nc_u32_e32 v6, s4, v4
	v_subrev_nc_u32_e32 v1, s4, v5
	s_delay_alu instid0(VALU_DEP_2) | instskip(NEXT) | instid1(VALU_DEP_1)
	v_ashrrev_i32_e32 v7, 31, v6
	v_lshl_add_u64 v[4:5], v[6:7], 2, s[6:7]
	s_branch .LBB0_4
.LBB0_3:                                ;   in Loop: Header=BB0_4 Depth=1
	s_or_b32 exec_lo, exec_lo, s5
	s_delay_alu instid0(SALU_CYCLE_1) | instskip(NEXT) | instid1(SALU_CYCLE_1)
	s_and_b32 s5, exec_lo, s3
	s_or_b32 s0, s5, s0
	s_and_not1_b32 s1, s1, exec_lo
	s_and_b32 s5, s2, exec_lo
	s_delay_alu instid0(SALU_CYCLE_1)
	s_or_b32 s1, s1, s5
	s_and_not1_b32 exec_lo, exec_lo, s0
	s_cbranch_execz .LBB0_6
.LBB0_4:                                ; =>This Inner Loop Header: Depth=1
	global_load_b32 v7, v[4:5], off
	s_or_b32 s2, s2, exec_lo
	s_or_b32 s3, s3, exec_lo
	s_mov_b32 s5, exec_lo
	s_wait_loadcnt 0x0
	v_subrev_nc_u32_e32 v8, s4, v7
	v_mov_b32_e32 v7, v6
                                        ; implicit-def: $vgpr6
	s_wait_xcnt 0x0
	s_delay_alu instid0(VALU_DEP_2)
	v_cmpx_lt_i32_e64 v8, v0
	s_cbranch_execz .LBB0_3
; %bb.5:                                ;   in Loop: Header=BB0_4 Depth=1
	s_delay_alu instid0(VALU_DEP_2) | instskip(SKIP_3) | instid1(VALU_DEP_2)
	v_add_nc_u32_e32 v6, 1, v7
	v_add_nc_u64_e32 v[4:5], 4, v[4:5]
	s_and_not1_b32 s3, s3, exec_lo
	s_and_not1_b32 s2, s2, exec_lo
	v_cmp_ge_i32_e32 vcc_lo, v6, v1
	s_and_b32 s6, vcc_lo, exec_lo
	s_delay_alu instid0(SALU_CYCLE_1)
	s_or_b32 s3, s3, s6
	s_branch .LBB0_3
.LBB0_6:
	s_or_b32 exec_lo, exec_lo, s0
	s_and_saveexec_b32 s0, s1
	s_delay_alu instid0(SALU_CYCLE_1)
	s_xor_b32 s0, exec_lo, s0
	s_cbranch_execz .LBB0_8
; %bb.7:
	v_add_nc_u32_e32 v0, s4, v7
	global_store_b32 v[2:3], v0, off
.LBB0_8:
	s_endpgm
	.section	.rodata,"a",@progbits
	.p2align	6, 0x0
	.amdhsa_kernel _ZN9rocsparseL19kernel_ptr_end_unitILj1024EiiEEvT1_PKT0_PKS1_PS2_21rocsparse_index_base_
		.amdhsa_group_segment_fixed_size 0
		.amdhsa_private_segment_fixed_size 0
		.amdhsa_kernarg_size 36
		.amdhsa_user_sgpr_count 2
		.amdhsa_user_sgpr_dispatch_ptr 0
		.amdhsa_user_sgpr_queue_ptr 0
		.amdhsa_user_sgpr_kernarg_segment_ptr 1
		.amdhsa_user_sgpr_dispatch_id 0
		.amdhsa_user_sgpr_kernarg_preload_length 0
		.amdhsa_user_sgpr_kernarg_preload_offset 0
		.amdhsa_user_sgpr_private_segment_size 0
		.amdhsa_wavefront_size32 1
		.amdhsa_uses_dynamic_stack 0
		.amdhsa_enable_private_segment 0
		.amdhsa_system_sgpr_workgroup_id_x 1
		.amdhsa_system_sgpr_workgroup_id_y 0
		.amdhsa_system_sgpr_workgroup_id_z 0
		.amdhsa_system_sgpr_workgroup_info 0
		.amdhsa_system_vgpr_workitem_id 0
		.amdhsa_next_free_vgpr 9
		.amdhsa_next_free_sgpr 8
		.amdhsa_named_barrier_count 0
		.amdhsa_reserve_vcc 1
		.amdhsa_float_round_mode_32 0
		.amdhsa_float_round_mode_16_64 0
		.amdhsa_float_denorm_mode_32 3
		.amdhsa_float_denorm_mode_16_64 3
		.amdhsa_fp16_overflow 0
		.amdhsa_memory_ordered 1
		.amdhsa_forward_progress 1
		.amdhsa_inst_pref_size 4
		.amdhsa_round_robin_scheduling 0
		.amdhsa_exception_fp_ieee_invalid_op 0
		.amdhsa_exception_fp_denorm_src 0
		.amdhsa_exception_fp_ieee_div_zero 0
		.amdhsa_exception_fp_ieee_overflow 0
		.amdhsa_exception_fp_ieee_underflow 0
		.amdhsa_exception_fp_ieee_inexact 0
		.amdhsa_exception_int_div_zero 0
	.end_amdhsa_kernel
	.section	.text._ZN9rocsparseL19kernel_ptr_end_unitILj1024EiiEEvT1_PKT0_PKS1_PS2_21rocsparse_index_base_,"axG",@progbits,_ZN9rocsparseL19kernel_ptr_end_unitILj1024EiiEEvT1_PKT0_PKS1_PS2_21rocsparse_index_base_,comdat
.Lfunc_end0:
	.size	_ZN9rocsparseL19kernel_ptr_end_unitILj1024EiiEEvT1_PKT0_PKS1_PS2_21rocsparse_index_base_, .Lfunc_end0-_ZN9rocsparseL19kernel_ptr_end_unitILj1024EiiEEvT1_PKT0_PKS1_PS2_21rocsparse_index_base_
                                        ; -- End function
	.set _ZN9rocsparseL19kernel_ptr_end_unitILj1024EiiEEvT1_PKT0_PKS1_PS2_21rocsparse_index_base_.num_vgpr, 9
	.set _ZN9rocsparseL19kernel_ptr_end_unitILj1024EiiEEvT1_PKT0_PKS1_PS2_21rocsparse_index_base_.num_agpr, 0
	.set _ZN9rocsparseL19kernel_ptr_end_unitILj1024EiiEEvT1_PKT0_PKS1_PS2_21rocsparse_index_base_.numbered_sgpr, 8
	.set _ZN9rocsparseL19kernel_ptr_end_unitILj1024EiiEEvT1_PKT0_PKS1_PS2_21rocsparse_index_base_.num_named_barrier, 0
	.set _ZN9rocsparseL19kernel_ptr_end_unitILj1024EiiEEvT1_PKT0_PKS1_PS2_21rocsparse_index_base_.private_seg_size, 0
	.set _ZN9rocsparseL19kernel_ptr_end_unitILj1024EiiEEvT1_PKT0_PKS1_PS2_21rocsparse_index_base_.uses_vcc, 1
	.set _ZN9rocsparseL19kernel_ptr_end_unitILj1024EiiEEvT1_PKT0_PKS1_PS2_21rocsparse_index_base_.uses_flat_scratch, 0
	.set _ZN9rocsparseL19kernel_ptr_end_unitILj1024EiiEEvT1_PKT0_PKS1_PS2_21rocsparse_index_base_.has_dyn_sized_stack, 0
	.set _ZN9rocsparseL19kernel_ptr_end_unitILj1024EiiEEvT1_PKT0_PKS1_PS2_21rocsparse_index_base_.has_recursion, 0
	.set _ZN9rocsparseL19kernel_ptr_end_unitILj1024EiiEEvT1_PKT0_PKS1_PS2_21rocsparse_index_base_.has_indirect_call, 0
	.section	.AMDGPU.csdata,"",@progbits
; Kernel info:
; codeLenInByte = 400
; TotalNumSgprs: 10
; NumVgprs: 9
; ScratchSize: 0
; MemoryBound: 0
; FloatMode: 240
; IeeeMode: 1
; LDSByteSize: 0 bytes/workgroup (compile time only)
; SGPRBlocks: 0
; VGPRBlocks: 0
; NumSGPRsForWavesPerEU: 10
; NumVGPRsForWavesPerEU: 9
; NamedBarCnt: 0
; Occupancy: 16
; WaveLimiterHint : 0
; COMPUTE_PGM_RSRC2:SCRATCH_EN: 0
; COMPUTE_PGM_RSRC2:USER_SGPR: 2
; COMPUTE_PGM_RSRC2:TRAP_HANDLER: 0
; COMPUTE_PGM_RSRC2:TGID_X_EN: 1
; COMPUTE_PGM_RSRC2:TGID_Y_EN: 0
; COMPUTE_PGM_RSRC2:TGID_Z_EN: 0
; COMPUTE_PGM_RSRC2:TIDIG_COMP_CNT: 0
	.section	.text._ZN9rocsparseL23kernel_ptr_end_non_unitILj1024EiiEEvT1_PKT0_PKS1_PS2_21rocsparse_index_base_,"axG",@progbits,_ZN9rocsparseL23kernel_ptr_end_non_unitILj1024EiiEEvT1_PKT0_PKS1_PS2_21rocsparse_index_base_,comdat
	.globl	_ZN9rocsparseL23kernel_ptr_end_non_unitILj1024EiiEEvT1_PKT0_PKS1_PS2_21rocsparse_index_base_ ; -- Begin function _ZN9rocsparseL23kernel_ptr_end_non_unitILj1024EiiEEvT1_PKT0_PKS1_PS2_21rocsparse_index_base_
	.p2align	8
	.type	_ZN9rocsparseL23kernel_ptr_end_non_unitILj1024EiiEEvT1_PKT0_PKS1_PS2_21rocsparse_index_base_,@function
_ZN9rocsparseL23kernel_ptr_end_non_unitILj1024EiiEEvT1_PKT0_PKS1_PS2_21rocsparse_index_base_: ; @_ZN9rocsparseL23kernel_ptr_end_non_unitILj1024EiiEEvT1_PKT0_PKS1_PS2_21rocsparse_index_base_
; %bb.0:
	s_load_b32 s2, s[0:1], 0x0
	s_bfe_u32 s3, ttmp6, 0x4000c
	s_and_b32 s4, ttmp6, 15
	s_add_co_i32 s3, s3, 1
	s_getreg_b32 s5, hwreg(HW_REG_IB_STS2, 6, 4)
	s_mul_i32 s3, ttmp9, s3
	s_delay_alu instid0(SALU_CYCLE_1) | instskip(SKIP_2) | instid1(SALU_CYCLE_1)
	s_add_co_i32 s4, s4, s3
	s_cmp_eq_u32 s5, 0
	s_cselect_b32 s3, ttmp9, s4
	v_lshl_or_b32 v0, s3, 10, v0
	s_wait_kmcnt 0x0
	s_delay_alu instid0(VALU_DEP_1)
	v_cmp_gt_u32_e32 vcc_lo, s2, v0
	s_and_saveexec_b32 s2, vcc_lo
	s_cbranch_execz .LBB1_8
; %bb.1:
	s_clause 0x1
	s_load_b64 s[4:5], s[0:1], 0x8
	s_load_b64 s[2:3], s[0:1], 0x18
	v_mov_b32_e32 v1, 0
	s_delay_alu instid0(VALU_DEP_1) | instskip(SKIP_1) | instid1(VALU_DEP_1)
	v_lshlrev_b64_e32 v[2:3], 2, v[0:1]
	s_wait_kmcnt 0x0
	v_add_nc_u64_e32 v[4:5], s[4:5], v[2:3]
	global_load_b64 v[4:5], v[4:5], off
	s_wait_loadcnt 0x0
	v_cmp_lt_i32_e32 vcc_lo, v4, v5
	global_store_b32 v0, v5, s[2:3] scale_offset
	s_wait_xcnt 0x0
	s_and_b32 exec_lo, exec_lo, vcc_lo
	s_cbranch_execz .LBB1_8
; %bb.2:
	s_clause 0x1
	s_load_b32 s4, s[0:1], 0x20
	s_load_b64 s[6:7], s[0:1], 0x10
	v_add_nc_u64_e32 v[2:3], s[2:3], v[2:3]
	s_wait_xcnt 0x0
	s_mov_b32 s0, 0
                                        ; implicit-def: $sgpr1
                                        ; implicit-def: $sgpr3
                                        ; implicit-def: $sgpr2
	s_wait_kmcnt 0x0
	v_subrev_nc_u32_e32 v6, s4, v4
	v_subrev_nc_u32_e32 v1, s4, v5
	s_delay_alu instid0(VALU_DEP_2) | instskip(NEXT) | instid1(VALU_DEP_1)
	v_ashrrev_i32_e32 v7, 31, v6
	v_lshl_add_u64 v[4:5], v[6:7], 2, s[6:7]
	s_branch .LBB1_4
.LBB1_3:                                ;   in Loop: Header=BB1_4 Depth=1
	s_or_b32 exec_lo, exec_lo, s5
	s_delay_alu instid0(SALU_CYCLE_1) | instskip(NEXT) | instid1(SALU_CYCLE_1)
	s_and_b32 s5, exec_lo, s3
	s_or_b32 s0, s5, s0
	s_and_not1_b32 s1, s1, exec_lo
	s_and_b32 s5, s2, exec_lo
	s_delay_alu instid0(SALU_CYCLE_1)
	s_or_b32 s1, s1, s5
	s_and_not1_b32 exec_lo, exec_lo, s0
	s_cbranch_execz .LBB1_6
.LBB1_4:                                ; =>This Inner Loop Header: Depth=1
	global_load_b32 v7, v[4:5], off
	s_or_b32 s2, s2, exec_lo
	s_or_b32 s3, s3, exec_lo
	s_mov_b32 s5, exec_lo
	s_wait_loadcnt 0x0
	v_subrev_nc_u32_e32 v8, s4, v7
	v_mov_b32_e32 v7, v6
                                        ; implicit-def: $vgpr6
	s_wait_xcnt 0x0
	s_delay_alu instid0(VALU_DEP_2)
	v_cmpx_le_u32_e64 v8, v0
	s_cbranch_execz .LBB1_3
; %bb.5:                                ;   in Loop: Header=BB1_4 Depth=1
	s_delay_alu instid0(VALU_DEP_2) | instskip(SKIP_3) | instid1(VALU_DEP_2)
	v_add_nc_u32_e32 v6, 1, v7
	v_add_nc_u64_e32 v[4:5], 4, v[4:5]
	s_and_not1_b32 s3, s3, exec_lo
	s_and_not1_b32 s2, s2, exec_lo
	v_cmp_ge_i32_e32 vcc_lo, v6, v1
	s_and_b32 s6, vcc_lo, exec_lo
	s_delay_alu instid0(SALU_CYCLE_1)
	s_or_b32 s3, s3, s6
	s_branch .LBB1_3
.LBB1_6:
	s_or_b32 exec_lo, exec_lo, s0
	s_and_saveexec_b32 s0, s1
	s_delay_alu instid0(SALU_CYCLE_1)
	s_xor_b32 s0, exec_lo, s0
	s_cbranch_execz .LBB1_8
; %bb.7:
	v_add_nc_u32_e32 v0, s4, v7
	global_store_b32 v[2:3], v0, off
.LBB1_8:
	s_endpgm
	.section	.rodata,"a",@progbits
	.p2align	6, 0x0
	.amdhsa_kernel _ZN9rocsparseL23kernel_ptr_end_non_unitILj1024EiiEEvT1_PKT0_PKS1_PS2_21rocsparse_index_base_
		.amdhsa_group_segment_fixed_size 0
		.amdhsa_private_segment_fixed_size 0
		.amdhsa_kernarg_size 36
		.amdhsa_user_sgpr_count 2
		.amdhsa_user_sgpr_dispatch_ptr 0
		.amdhsa_user_sgpr_queue_ptr 0
		.amdhsa_user_sgpr_kernarg_segment_ptr 1
		.amdhsa_user_sgpr_dispatch_id 0
		.amdhsa_user_sgpr_kernarg_preload_length 0
		.amdhsa_user_sgpr_kernarg_preload_offset 0
		.amdhsa_user_sgpr_private_segment_size 0
		.amdhsa_wavefront_size32 1
		.amdhsa_uses_dynamic_stack 0
		.amdhsa_enable_private_segment 0
		.amdhsa_system_sgpr_workgroup_id_x 1
		.amdhsa_system_sgpr_workgroup_id_y 0
		.amdhsa_system_sgpr_workgroup_id_z 0
		.amdhsa_system_sgpr_workgroup_info 0
		.amdhsa_system_vgpr_workitem_id 0
		.amdhsa_next_free_vgpr 9
		.amdhsa_next_free_sgpr 8
		.amdhsa_named_barrier_count 0
		.amdhsa_reserve_vcc 1
		.amdhsa_float_round_mode_32 0
		.amdhsa_float_round_mode_16_64 0
		.amdhsa_float_denorm_mode_32 3
		.amdhsa_float_denorm_mode_16_64 3
		.amdhsa_fp16_overflow 0
		.amdhsa_memory_ordered 1
		.amdhsa_forward_progress 1
		.amdhsa_inst_pref_size 4
		.amdhsa_round_robin_scheduling 0
		.amdhsa_exception_fp_ieee_invalid_op 0
		.amdhsa_exception_fp_denorm_src 0
		.amdhsa_exception_fp_ieee_div_zero 0
		.amdhsa_exception_fp_ieee_overflow 0
		.amdhsa_exception_fp_ieee_underflow 0
		.amdhsa_exception_fp_ieee_inexact 0
		.amdhsa_exception_int_div_zero 0
	.end_amdhsa_kernel
	.section	.text._ZN9rocsparseL23kernel_ptr_end_non_unitILj1024EiiEEvT1_PKT0_PKS1_PS2_21rocsparse_index_base_,"axG",@progbits,_ZN9rocsparseL23kernel_ptr_end_non_unitILj1024EiiEEvT1_PKT0_PKS1_PS2_21rocsparse_index_base_,comdat
.Lfunc_end1:
	.size	_ZN9rocsparseL23kernel_ptr_end_non_unitILj1024EiiEEvT1_PKT0_PKS1_PS2_21rocsparse_index_base_, .Lfunc_end1-_ZN9rocsparseL23kernel_ptr_end_non_unitILj1024EiiEEvT1_PKT0_PKS1_PS2_21rocsparse_index_base_
                                        ; -- End function
	.set _ZN9rocsparseL23kernel_ptr_end_non_unitILj1024EiiEEvT1_PKT0_PKS1_PS2_21rocsparse_index_base_.num_vgpr, 9
	.set _ZN9rocsparseL23kernel_ptr_end_non_unitILj1024EiiEEvT1_PKT0_PKS1_PS2_21rocsparse_index_base_.num_agpr, 0
	.set _ZN9rocsparseL23kernel_ptr_end_non_unitILj1024EiiEEvT1_PKT0_PKS1_PS2_21rocsparse_index_base_.numbered_sgpr, 8
	.set _ZN9rocsparseL23kernel_ptr_end_non_unitILj1024EiiEEvT1_PKT0_PKS1_PS2_21rocsparse_index_base_.num_named_barrier, 0
	.set _ZN9rocsparseL23kernel_ptr_end_non_unitILj1024EiiEEvT1_PKT0_PKS1_PS2_21rocsparse_index_base_.private_seg_size, 0
	.set _ZN9rocsparseL23kernel_ptr_end_non_unitILj1024EiiEEvT1_PKT0_PKS1_PS2_21rocsparse_index_base_.uses_vcc, 1
	.set _ZN9rocsparseL23kernel_ptr_end_non_unitILj1024EiiEEvT1_PKT0_PKS1_PS2_21rocsparse_index_base_.uses_flat_scratch, 0
	.set _ZN9rocsparseL23kernel_ptr_end_non_unitILj1024EiiEEvT1_PKT0_PKS1_PS2_21rocsparse_index_base_.has_dyn_sized_stack, 0
	.set _ZN9rocsparseL23kernel_ptr_end_non_unitILj1024EiiEEvT1_PKT0_PKS1_PS2_21rocsparse_index_base_.has_recursion, 0
	.set _ZN9rocsparseL23kernel_ptr_end_non_unitILj1024EiiEEvT1_PKT0_PKS1_PS2_21rocsparse_index_base_.has_indirect_call, 0
	.section	.AMDGPU.csdata,"",@progbits
; Kernel info:
; codeLenInByte = 400
; TotalNumSgprs: 10
; NumVgprs: 9
; ScratchSize: 0
; MemoryBound: 0
; FloatMode: 240
; IeeeMode: 1
; LDSByteSize: 0 bytes/workgroup (compile time only)
; SGPRBlocks: 0
; VGPRBlocks: 0
; NumSGPRsForWavesPerEU: 10
; NumVGPRsForWavesPerEU: 9
; NamedBarCnt: 0
; Occupancy: 16
; WaveLimiterHint : 0
; COMPUTE_PGM_RSRC2:SCRATCH_EN: 0
; COMPUTE_PGM_RSRC2:USER_SGPR: 2
; COMPUTE_PGM_RSRC2:TRAP_HANDLER: 0
; COMPUTE_PGM_RSRC2:TGID_X_EN: 1
; COMPUTE_PGM_RSRC2:TGID_Y_EN: 0
; COMPUTE_PGM_RSRC2:TGID_Z_EN: 0
; COMPUTE_PGM_RSRC2:TIDIG_COMP_CNT: 0
	.section	.text._ZN9rocsparseL29kernel_count_missing_diagonalILj1024EiiEEvT1_PKT0_S1_PKS1_21rocsparse_index_base_PS1_Pi,"axG",@progbits,_ZN9rocsparseL29kernel_count_missing_diagonalILj1024EiiEEvT1_PKT0_S1_PKS1_21rocsparse_index_base_PS1_Pi,comdat
	.globl	_ZN9rocsparseL29kernel_count_missing_diagonalILj1024EiiEEvT1_PKT0_S1_PKS1_21rocsparse_index_base_PS1_Pi ; -- Begin function _ZN9rocsparseL29kernel_count_missing_diagonalILj1024EiiEEvT1_PKT0_S1_PKS1_21rocsparse_index_base_PS1_Pi
	.p2align	8
	.type	_ZN9rocsparseL29kernel_count_missing_diagonalILj1024EiiEEvT1_PKT0_S1_PKS1_21rocsparse_index_base_PS1_Pi,@function
_ZN9rocsparseL29kernel_count_missing_diagonalILj1024EiiEEvT1_PKT0_S1_PKS1_21rocsparse_index_base_PS1_Pi: ; @_ZN9rocsparseL29kernel_count_missing_diagonalILj1024EiiEEvT1_PKT0_S1_PKS1_21rocsparse_index_base_PS1_Pi
; %bb.0:
	s_load_b32 s2, s[0:1], 0x0
	s_bfe_u32 s3, ttmp6, 0x4000c
	s_and_b32 s4, ttmp6, 15
	s_add_co_i32 s3, s3, 1
	s_getreg_b32 s5, hwreg(HW_REG_IB_STS2, 6, 4)
	s_mul_i32 s3, ttmp9, s3
	s_delay_alu instid0(SALU_CYCLE_1) | instskip(SKIP_2) | instid1(SALU_CYCLE_1)
	s_add_co_i32 s4, s4, s3
	s_cmp_eq_u32 s5, 0
	s_cselect_b32 s3, ttmp9, s4
	v_lshl_or_b32 v0, s3, 10, v0
	s_wait_kmcnt 0x0
	s_delay_alu instid0(VALU_DEP_1)
	v_cmp_gt_i32_e32 vcc_lo, s2, v0
	s_and_saveexec_b32 s2, vcc_lo
	s_cbranch_execz .LBB2_8
; %bb.1:
	s_clause 0x1
	s_load_b96 s[4:6], s[0:1], 0x8
	s_load_b96 s[8:10], s[0:1], 0x18
	s_wait_kmcnt 0x0
	global_load_b32 v1, v0, s[4:5] scale_offset
	s_sub_co_i32 s2, s6, s10
	s_wait_loadcnt 0x0
	v_add_nc_u32_e32 v1, s2, v1
	global_load_b32 v1, v1, s[8:9] scale_offset
	s_wait_loadcnt 0x0
	v_subrev_nc_u32_e32 v1, s10, v1
	s_delay_alu instid0(VALU_DEP_1)
	v_cmp_ne_u32_e32 vcc_lo, v1, v0
	s_and_b32 exec_lo, exec_lo, vcc_lo
	s_cbranch_execz .LBB2_8
; %bb.2:
	s_load_b128 s[4:7], s[0:1], 0x28
	v_add_nc_u32_e32 v0, s10, v0
	s_mov_b32 s2, exec_lo
	s_wait_xcnt 0x0
	s_brev_b32 s0, -2
.LBB2_3:                                ; =>This Inner Loop Header: Depth=1
	s_ctz_i32_b32 s1, s2
	s_delay_alu instid0(SALU_CYCLE_1) | instskip(SKIP_1) | instid1(SALU_CYCLE_1)
	v_readlane_b32 s3, v0, s1
	s_lshl_b32 s1, 1, s1
	s_and_not1_b32 s2, s2, s1
	s_min_i32 s0, s0, s3
	s_cmp_lg_u32 s2, 0
	s_cbranch_scc1 .LBB2_3
; %bb.4:
	v_mbcnt_lo_u32_b32 v0, exec_lo, 0
	s_mov_b32 s1, exec_lo
	s_delay_alu instid0(VALU_DEP_1)
	v_cmpx_eq_u32_e32 0, v0
	s_xor_b32 s1, exec_lo, s1
	s_cbranch_execz .LBB2_6
; %bb.5:
	v_dual_mov_b32 v0, 0 :: v_dual_mov_b32 v1, s0
	s_wait_kmcnt 0x0
	global_atomic_min_i32 v0, v1, s[6:7] scope:SCOPE_DEV
.LBB2_6:
	s_wait_xcnt 0x0
	s_or_b32 exec_lo, exec_lo, s1
	s_delay_alu instid0(SALU_CYCLE_1) | instskip(NEXT) | instid1(SALU_CYCLE_1)
	s_mov_b32 s0, exec_lo
	v_mbcnt_lo_u32_b32 v0, s0, 0
	s_delay_alu instid0(VALU_DEP_1) | instskip(SKIP_1) | instid1(SALU_CYCLE_1)
	v_cmp_eq_u32_e32 vcc_lo, 0, v0
	s_and_b32 s1, exec_lo, vcc_lo
	s_mov_b32 exec_lo, s1
	s_cbranch_execz .LBB2_8
; %bb.7:
	s_bcnt1_i32_b32 s0, s0
	s_delay_alu instid0(SALU_CYCLE_1)
	v_dual_mov_b32 v0, 0 :: v_dual_mov_b32 v1, s0
	s_wait_kmcnt 0x0
	global_atomic_add_u32 v0, v1, s[4:5] scope:SCOPE_DEV
.LBB2_8:
	s_endpgm
	.section	.rodata,"a",@progbits
	.p2align	6, 0x0
	.amdhsa_kernel _ZN9rocsparseL29kernel_count_missing_diagonalILj1024EiiEEvT1_PKT0_S1_PKS1_21rocsparse_index_base_PS1_Pi
		.amdhsa_group_segment_fixed_size 0
		.amdhsa_private_segment_fixed_size 0
		.amdhsa_kernarg_size 56
		.amdhsa_user_sgpr_count 2
		.amdhsa_user_sgpr_dispatch_ptr 0
		.amdhsa_user_sgpr_queue_ptr 0
		.amdhsa_user_sgpr_kernarg_segment_ptr 1
		.amdhsa_user_sgpr_dispatch_id 0
		.amdhsa_user_sgpr_kernarg_preload_length 0
		.amdhsa_user_sgpr_kernarg_preload_offset 0
		.amdhsa_user_sgpr_private_segment_size 0
		.amdhsa_wavefront_size32 1
		.amdhsa_uses_dynamic_stack 0
		.amdhsa_enable_private_segment 0
		.amdhsa_system_sgpr_workgroup_id_x 1
		.amdhsa_system_sgpr_workgroup_id_y 0
		.amdhsa_system_sgpr_workgroup_id_z 0
		.amdhsa_system_sgpr_workgroup_info 0
		.amdhsa_system_vgpr_workitem_id 0
		.amdhsa_next_free_vgpr 2
		.amdhsa_next_free_sgpr 11
		.amdhsa_named_barrier_count 0
		.amdhsa_reserve_vcc 1
		.amdhsa_float_round_mode_32 0
		.amdhsa_float_round_mode_16_64 0
		.amdhsa_float_denorm_mode_32 3
		.amdhsa_float_denorm_mode_16_64 3
		.amdhsa_fp16_overflow 0
		.amdhsa_memory_ordered 1
		.amdhsa_forward_progress 1
		.amdhsa_inst_pref_size 3
		.amdhsa_round_robin_scheduling 0
		.amdhsa_exception_fp_ieee_invalid_op 0
		.amdhsa_exception_fp_denorm_src 0
		.amdhsa_exception_fp_ieee_div_zero 0
		.amdhsa_exception_fp_ieee_overflow 0
		.amdhsa_exception_fp_ieee_underflow 0
		.amdhsa_exception_fp_ieee_inexact 0
		.amdhsa_exception_int_div_zero 0
	.end_amdhsa_kernel
	.section	.text._ZN9rocsparseL29kernel_count_missing_diagonalILj1024EiiEEvT1_PKT0_S1_PKS1_21rocsparse_index_base_PS1_Pi,"axG",@progbits,_ZN9rocsparseL29kernel_count_missing_diagonalILj1024EiiEEvT1_PKT0_S1_PKS1_21rocsparse_index_base_PS1_Pi,comdat
.Lfunc_end2:
	.size	_ZN9rocsparseL29kernel_count_missing_diagonalILj1024EiiEEvT1_PKT0_S1_PKS1_21rocsparse_index_base_PS1_Pi, .Lfunc_end2-_ZN9rocsparseL29kernel_count_missing_diagonalILj1024EiiEEvT1_PKT0_S1_PKS1_21rocsparse_index_base_PS1_Pi
                                        ; -- End function
	.set _ZN9rocsparseL29kernel_count_missing_diagonalILj1024EiiEEvT1_PKT0_S1_PKS1_21rocsparse_index_base_PS1_Pi.num_vgpr, 2
	.set _ZN9rocsparseL29kernel_count_missing_diagonalILj1024EiiEEvT1_PKT0_S1_PKS1_21rocsparse_index_base_PS1_Pi.num_agpr, 0
	.set _ZN9rocsparseL29kernel_count_missing_diagonalILj1024EiiEEvT1_PKT0_S1_PKS1_21rocsparse_index_base_PS1_Pi.numbered_sgpr, 11
	.set _ZN9rocsparseL29kernel_count_missing_diagonalILj1024EiiEEvT1_PKT0_S1_PKS1_21rocsparse_index_base_PS1_Pi.num_named_barrier, 0
	.set _ZN9rocsparseL29kernel_count_missing_diagonalILj1024EiiEEvT1_PKT0_S1_PKS1_21rocsparse_index_base_PS1_Pi.private_seg_size, 0
	.set _ZN9rocsparseL29kernel_count_missing_diagonalILj1024EiiEEvT1_PKT0_S1_PKS1_21rocsparse_index_base_PS1_Pi.uses_vcc, 1
	.set _ZN9rocsparseL29kernel_count_missing_diagonalILj1024EiiEEvT1_PKT0_S1_PKS1_21rocsparse_index_base_PS1_Pi.uses_flat_scratch, 0
	.set _ZN9rocsparseL29kernel_count_missing_diagonalILj1024EiiEEvT1_PKT0_S1_PKS1_21rocsparse_index_base_PS1_Pi.has_dyn_sized_stack, 0
	.set _ZN9rocsparseL29kernel_count_missing_diagonalILj1024EiiEEvT1_PKT0_S1_PKS1_21rocsparse_index_base_PS1_Pi.has_recursion, 0
	.set _ZN9rocsparseL29kernel_count_missing_diagonalILj1024EiiEEvT1_PKT0_S1_PKS1_21rocsparse_index_base_PS1_Pi.has_indirect_call, 0
	.section	.AMDGPU.csdata,"",@progbits
; Kernel info:
; codeLenInByte = 352
; TotalNumSgprs: 13
; NumVgprs: 2
; ScratchSize: 0
; MemoryBound: 0
; FloatMode: 240
; IeeeMode: 1
; LDSByteSize: 0 bytes/workgroup (compile time only)
; SGPRBlocks: 0
; VGPRBlocks: 0
; NumSGPRsForWavesPerEU: 13
; NumVGPRsForWavesPerEU: 2
; NamedBarCnt: 0
; Occupancy: 16
; WaveLimiterHint : 1
; COMPUTE_PGM_RSRC2:SCRATCH_EN: 0
; COMPUTE_PGM_RSRC2:USER_SGPR: 2
; COMPUTE_PGM_RSRC2:TRAP_HANDLER: 0
; COMPUTE_PGM_RSRC2:TGID_X_EN: 1
; COMPUTE_PGM_RSRC2:TGID_Y_EN: 0
; COMPUTE_PGM_RSRC2:TGID_Z_EN: 0
; COMPUTE_PGM_RSRC2:TIDIG_COMP_CNT: 0
	.section	.text._ZN9rocsparseL30kernel_count_missing_diagonal2IL20rocsparse_fill_mode_0ELj1024EiiEEvT2_PKT1_PKS2_21rocsparse_index_base_PS2_Pi,"axG",@progbits,_ZN9rocsparseL30kernel_count_missing_diagonal2IL20rocsparse_fill_mode_0ELj1024EiiEEvT2_PKT1_PKS2_21rocsparse_index_base_PS2_Pi,comdat
	.globl	_ZN9rocsparseL30kernel_count_missing_diagonal2IL20rocsparse_fill_mode_0ELj1024EiiEEvT2_PKT1_PKS2_21rocsparse_index_base_PS2_Pi ; -- Begin function _ZN9rocsparseL30kernel_count_missing_diagonal2IL20rocsparse_fill_mode_0ELj1024EiiEEvT2_PKT1_PKS2_21rocsparse_index_base_PS2_Pi
	.p2align	8
	.type	_ZN9rocsparseL30kernel_count_missing_diagonal2IL20rocsparse_fill_mode_0ELj1024EiiEEvT2_PKT1_PKS2_21rocsparse_index_base_PS2_Pi,@function
_ZN9rocsparseL30kernel_count_missing_diagonal2IL20rocsparse_fill_mode_0ELj1024EiiEEvT2_PKT1_PKS2_21rocsparse_index_base_PS2_Pi: ; @_ZN9rocsparseL30kernel_count_missing_diagonal2IL20rocsparse_fill_mode_0ELj1024EiiEEvT2_PKT1_PKS2_21rocsparse_index_base_PS2_Pi
; %bb.0:
	s_load_b32 s2, s[0:1], 0x0
	s_bfe_u32 s3, ttmp6, 0x4000c
	s_and_b32 s4, ttmp6, 15
	s_add_co_i32 s3, s3, 1
	s_getreg_b32 s5, hwreg(HW_REG_IB_STS2, 6, 4)
	s_mul_i32 s3, ttmp9, s3
	s_delay_alu instid0(SALU_CYCLE_1) | instskip(SKIP_2) | instid1(SALU_CYCLE_1)
	s_add_co_i32 s4, s4, s3
	s_cmp_eq_u32 s5, 0
	s_cselect_b32 s3, ttmp9, s4
	v_lshl_or_b32 v0, s3, 10, v0
	s_wait_kmcnt 0x0
	s_delay_alu instid0(VALU_DEP_1)
	v_cmp_gt_i32_e32 vcc_lo, s2, v0
	s_and_saveexec_b32 s2, vcc_lo
	s_cbranch_execz .LBB3_8
; %bb.1:
	s_clause 0x1
	s_load_b128 s[8:11], s[0:1], 0x8
	s_load_b32 s4, s[0:1], 0x18
	s_wait_kmcnt 0x0
	global_load_b32 v1, v0, s[8:9] offset:4 scale_offset
	s_wait_loadcnt 0x0
	v_xad_u32 v1, s4, -1, v1
	global_load_b32 v1, v1, s[10:11] scale_offset
	s_wait_loadcnt 0x0
	v_subrev_nc_u32_e32 v1, s4, v1
	s_delay_alu instid0(VALU_DEP_1)
	v_cmp_ne_u32_e32 vcc_lo, v1, v0
	s_and_b32 exec_lo, exec_lo, vcc_lo
	s_cbranch_execz .LBB3_8
; %bb.2:
	s_load_b128 s[0:3], s[0:1], 0x20
	v_add_nc_u32_e32 v0, s4, v0
	s_mov_b32 s5, exec_lo
	s_brev_b32 s4, -2
.LBB3_3:                                ; =>This Inner Loop Header: Depth=1
	s_ctz_i32_b32 s6, s5
	s_delay_alu instid0(VALU_DEP_1) | instid1(SALU_CYCLE_1)
	v_readlane_b32 s7, v0, s6
	s_lshl_b32 s6, 1, s6
	s_delay_alu instid0(SALU_CYCLE_1)
	s_and_not1_b32 s5, s5, s6
	s_min_i32 s4, s4, s7
	s_cmp_lg_u32 s5, 0
	s_cbranch_scc1 .LBB3_3
; %bb.4:
	v_mbcnt_lo_u32_b32 v0, exec_lo, 0
	s_mov_b32 s5, exec_lo
	s_delay_alu instid0(VALU_DEP_1)
	v_cmpx_eq_u32_e32 0, v0
	s_xor_b32 s5, exec_lo, s5
	s_cbranch_execz .LBB3_6
; %bb.5:
	v_dual_mov_b32 v0, 0 :: v_dual_mov_b32 v1, s4
	s_wait_xcnt 0x0
	s_wait_kmcnt 0x0
	global_atomic_min_i32 v0, v1, s[2:3] scope:SCOPE_DEV
.LBB3_6:
	s_wait_xcnt 0x0
	s_or_b32 exec_lo, exec_lo, s5
	s_wait_kmcnt 0x0
	s_mov_b32 s2, exec_lo
	s_delay_alu instid0(SALU_CYCLE_1) | instskip(NEXT) | instid1(VALU_DEP_1)
	v_mbcnt_lo_u32_b32 v0, s2, 0
	v_cmp_eq_u32_e32 vcc_lo, 0, v0
	s_and_b32 s3, exec_lo, vcc_lo
	s_delay_alu instid0(SALU_CYCLE_1)
	s_mov_b32 exec_lo, s3
	s_cbranch_execz .LBB3_8
; %bb.7:
	s_bcnt1_i32_b32 s2, s2
	s_delay_alu instid0(SALU_CYCLE_1)
	v_dual_mov_b32 v0, 0 :: v_dual_mov_b32 v1, s2
	global_atomic_add_u32 v0, v1, s[0:1] scope:SCOPE_DEV
.LBB3_8:
	s_endpgm
	.section	.rodata,"a",@progbits
	.p2align	6, 0x0
	.amdhsa_kernel _ZN9rocsparseL30kernel_count_missing_diagonal2IL20rocsparse_fill_mode_0ELj1024EiiEEvT2_PKT1_PKS2_21rocsparse_index_base_PS2_Pi
		.amdhsa_group_segment_fixed_size 0
		.amdhsa_private_segment_fixed_size 0
		.amdhsa_kernarg_size 48
		.amdhsa_user_sgpr_count 2
		.amdhsa_user_sgpr_dispatch_ptr 0
		.amdhsa_user_sgpr_queue_ptr 0
		.amdhsa_user_sgpr_kernarg_segment_ptr 1
		.amdhsa_user_sgpr_dispatch_id 0
		.amdhsa_user_sgpr_kernarg_preload_length 0
		.amdhsa_user_sgpr_kernarg_preload_offset 0
		.amdhsa_user_sgpr_private_segment_size 0
		.amdhsa_wavefront_size32 1
		.amdhsa_uses_dynamic_stack 0
		.amdhsa_enable_private_segment 0
		.amdhsa_system_sgpr_workgroup_id_x 1
		.amdhsa_system_sgpr_workgroup_id_y 0
		.amdhsa_system_sgpr_workgroup_id_z 0
		.amdhsa_system_sgpr_workgroup_info 0
		.amdhsa_system_vgpr_workitem_id 0
		.amdhsa_next_free_vgpr 2
		.amdhsa_next_free_sgpr 12
		.amdhsa_named_barrier_count 0
		.amdhsa_reserve_vcc 1
		.amdhsa_float_round_mode_32 0
		.amdhsa_float_round_mode_16_64 0
		.amdhsa_float_denorm_mode_32 3
		.amdhsa_float_denorm_mode_16_64 3
		.amdhsa_fp16_overflow 0
		.amdhsa_memory_ordered 1
		.amdhsa_forward_progress 1
		.amdhsa_inst_pref_size 3
		.amdhsa_round_robin_scheduling 0
		.amdhsa_exception_fp_ieee_invalid_op 0
		.amdhsa_exception_fp_denorm_src 0
		.amdhsa_exception_fp_ieee_div_zero 0
		.amdhsa_exception_fp_ieee_overflow 0
		.amdhsa_exception_fp_ieee_underflow 0
		.amdhsa_exception_fp_ieee_inexact 0
		.amdhsa_exception_int_div_zero 0
	.end_amdhsa_kernel
	.section	.text._ZN9rocsparseL30kernel_count_missing_diagonal2IL20rocsparse_fill_mode_0ELj1024EiiEEvT2_PKT1_PKS2_21rocsparse_index_base_PS2_Pi,"axG",@progbits,_ZN9rocsparseL30kernel_count_missing_diagonal2IL20rocsparse_fill_mode_0ELj1024EiiEEvT2_PKT1_PKS2_21rocsparse_index_base_PS2_Pi,comdat
.Lfunc_end3:
	.size	_ZN9rocsparseL30kernel_count_missing_diagonal2IL20rocsparse_fill_mode_0ELj1024EiiEEvT2_PKT1_PKS2_21rocsparse_index_base_PS2_Pi, .Lfunc_end3-_ZN9rocsparseL30kernel_count_missing_diagonal2IL20rocsparse_fill_mode_0ELj1024EiiEEvT2_PKT1_PKS2_21rocsparse_index_base_PS2_Pi
                                        ; -- End function
	.set _ZN9rocsparseL30kernel_count_missing_diagonal2IL20rocsparse_fill_mode_0ELj1024EiiEEvT2_PKT1_PKS2_21rocsparse_index_base_PS2_Pi.num_vgpr, 2
	.set _ZN9rocsparseL30kernel_count_missing_diagonal2IL20rocsparse_fill_mode_0ELj1024EiiEEvT2_PKT1_PKS2_21rocsparse_index_base_PS2_Pi.num_agpr, 0
	.set _ZN9rocsparseL30kernel_count_missing_diagonal2IL20rocsparse_fill_mode_0ELj1024EiiEEvT2_PKT1_PKS2_21rocsparse_index_base_PS2_Pi.numbered_sgpr, 12
	.set _ZN9rocsparseL30kernel_count_missing_diagonal2IL20rocsparse_fill_mode_0ELj1024EiiEEvT2_PKT1_PKS2_21rocsparse_index_base_PS2_Pi.num_named_barrier, 0
	.set _ZN9rocsparseL30kernel_count_missing_diagonal2IL20rocsparse_fill_mode_0ELj1024EiiEEvT2_PKT1_PKS2_21rocsparse_index_base_PS2_Pi.private_seg_size, 0
	.set _ZN9rocsparseL30kernel_count_missing_diagonal2IL20rocsparse_fill_mode_0ELj1024EiiEEvT2_PKT1_PKS2_21rocsparse_index_base_PS2_Pi.uses_vcc, 1
	.set _ZN9rocsparseL30kernel_count_missing_diagonal2IL20rocsparse_fill_mode_0ELj1024EiiEEvT2_PKT1_PKS2_21rocsparse_index_base_PS2_Pi.uses_flat_scratch, 0
	.set _ZN9rocsparseL30kernel_count_missing_diagonal2IL20rocsparse_fill_mode_0ELj1024EiiEEvT2_PKT1_PKS2_21rocsparse_index_base_PS2_Pi.has_dyn_sized_stack, 0
	.set _ZN9rocsparseL30kernel_count_missing_diagonal2IL20rocsparse_fill_mode_0ELj1024EiiEEvT2_PKT1_PKS2_21rocsparse_index_base_PS2_Pi.has_recursion, 0
	.set _ZN9rocsparseL30kernel_count_missing_diagonal2IL20rocsparse_fill_mode_0ELj1024EiiEEvT2_PKT1_PKS2_21rocsparse_index_base_PS2_Pi.has_indirect_call, 0
	.section	.AMDGPU.csdata,"",@progbits
; Kernel info:
; codeLenInByte = 356
; TotalNumSgprs: 14
; NumVgprs: 2
; ScratchSize: 0
; MemoryBound: 0
; FloatMode: 240
; IeeeMode: 1
; LDSByteSize: 0 bytes/workgroup (compile time only)
; SGPRBlocks: 0
; VGPRBlocks: 0
; NumSGPRsForWavesPerEU: 14
; NumVGPRsForWavesPerEU: 2
; NamedBarCnt: 0
; Occupancy: 16
; WaveLimiterHint : 1
; COMPUTE_PGM_RSRC2:SCRATCH_EN: 0
; COMPUTE_PGM_RSRC2:USER_SGPR: 2
; COMPUTE_PGM_RSRC2:TRAP_HANDLER: 0
; COMPUTE_PGM_RSRC2:TGID_X_EN: 1
; COMPUTE_PGM_RSRC2:TGID_Y_EN: 0
; COMPUTE_PGM_RSRC2:TGID_Z_EN: 0
; COMPUTE_PGM_RSRC2:TIDIG_COMP_CNT: 0
	.section	.text._ZN9rocsparseL30kernel_count_missing_diagonal2IL20rocsparse_fill_mode_1ELj1024EiiEEvT2_PKT1_PKS2_21rocsparse_index_base_PS2_Pi,"axG",@progbits,_ZN9rocsparseL30kernel_count_missing_diagonal2IL20rocsparse_fill_mode_1ELj1024EiiEEvT2_PKT1_PKS2_21rocsparse_index_base_PS2_Pi,comdat
	.globl	_ZN9rocsparseL30kernel_count_missing_diagonal2IL20rocsparse_fill_mode_1ELj1024EiiEEvT2_PKT1_PKS2_21rocsparse_index_base_PS2_Pi ; -- Begin function _ZN9rocsparseL30kernel_count_missing_diagonal2IL20rocsparse_fill_mode_1ELj1024EiiEEvT2_PKT1_PKS2_21rocsparse_index_base_PS2_Pi
	.p2align	8
	.type	_ZN9rocsparseL30kernel_count_missing_diagonal2IL20rocsparse_fill_mode_1ELj1024EiiEEvT2_PKT1_PKS2_21rocsparse_index_base_PS2_Pi,@function
_ZN9rocsparseL30kernel_count_missing_diagonal2IL20rocsparse_fill_mode_1ELj1024EiiEEvT2_PKT1_PKS2_21rocsparse_index_base_PS2_Pi: ; @_ZN9rocsparseL30kernel_count_missing_diagonal2IL20rocsparse_fill_mode_1ELj1024EiiEEvT2_PKT1_PKS2_21rocsparse_index_base_PS2_Pi
; %bb.0:
	s_load_b32 s2, s[0:1], 0x0
	s_bfe_u32 s3, ttmp6, 0x4000c
	s_and_b32 s4, ttmp6, 15
	s_add_co_i32 s3, s3, 1
	s_getreg_b32 s5, hwreg(HW_REG_IB_STS2, 6, 4)
	s_mul_i32 s3, ttmp9, s3
	s_delay_alu instid0(SALU_CYCLE_1) | instskip(SKIP_2) | instid1(SALU_CYCLE_1)
	s_add_co_i32 s4, s4, s3
	s_cmp_eq_u32 s5, 0
	s_cselect_b32 s3, ttmp9, s4
	v_lshl_or_b32 v0, s3, 10, v0
	s_wait_kmcnt 0x0
	s_delay_alu instid0(VALU_DEP_1)
	v_cmp_gt_i32_e32 vcc_lo, s2, v0
	s_and_saveexec_b32 s2, vcc_lo
	s_cbranch_execz .LBB4_8
; %bb.1:
	s_clause 0x1
	s_load_b128 s[8:11], s[0:1], 0x8
	s_load_b32 s4, s[0:1], 0x18
	s_wait_kmcnt 0x0
	global_load_b32 v1, v0, s[8:9] scale_offset
	s_wait_loadcnt 0x0
	v_subrev_nc_u32_e32 v1, s4, v1
	global_load_b32 v1, v1, s[10:11] scale_offset
	s_wait_loadcnt 0x0
	v_subrev_nc_u32_e32 v1, s4, v1
	s_delay_alu instid0(VALU_DEP_1)
	v_cmp_ne_u32_e32 vcc_lo, v1, v0
	s_and_b32 exec_lo, exec_lo, vcc_lo
	s_cbranch_execz .LBB4_8
; %bb.2:
	s_load_b128 s[0:3], s[0:1], 0x20
	v_add_nc_u32_e32 v0, s4, v0
	s_mov_b32 s5, exec_lo
	s_brev_b32 s4, -2
.LBB4_3:                                ; =>This Inner Loop Header: Depth=1
	s_ctz_i32_b32 s6, s5
	s_delay_alu instid0(VALU_DEP_1) | instid1(SALU_CYCLE_1)
	v_readlane_b32 s7, v0, s6
	s_lshl_b32 s6, 1, s6
	s_delay_alu instid0(SALU_CYCLE_1)
	s_and_not1_b32 s5, s5, s6
	s_min_i32 s4, s4, s7
	s_cmp_lg_u32 s5, 0
	s_cbranch_scc1 .LBB4_3
; %bb.4:
	v_mbcnt_lo_u32_b32 v0, exec_lo, 0
	s_mov_b32 s5, exec_lo
	s_delay_alu instid0(VALU_DEP_1)
	v_cmpx_eq_u32_e32 0, v0
	s_xor_b32 s5, exec_lo, s5
	s_cbranch_execz .LBB4_6
; %bb.5:
	v_dual_mov_b32 v0, 0 :: v_dual_mov_b32 v1, s4
	s_wait_xcnt 0x0
	s_wait_kmcnt 0x0
	global_atomic_min_i32 v0, v1, s[2:3] scope:SCOPE_DEV
.LBB4_6:
	s_wait_xcnt 0x0
	s_or_b32 exec_lo, exec_lo, s5
	s_wait_kmcnt 0x0
	s_mov_b32 s2, exec_lo
	s_delay_alu instid0(SALU_CYCLE_1) | instskip(NEXT) | instid1(VALU_DEP_1)
	v_mbcnt_lo_u32_b32 v0, s2, 0
	v_cmp_eq_u32_e32 vcc_lo, 0, v0
	s_and_b32 s3, exec_lo, vcc_lo
	s_delay_alu instid0(SALU_CYCLE_1)
	s_mov_b32 exec_lo, s3
	s_cbranch_execz .LBB4_8
; %bb.7:
	s_bcnt1_i32_b32 s2, s2
	s_delay_alu instid0(SALU_CYCLE_1)
	v_dual_mov_b32 v0, 0 :: v_dual_mov_b32 v1, s2
	global_atomic_add_u32 v0, v1, s[0:1] scope:SCOPE_DEV
.LBB4_8:
	s_endpgm
	.section	.rodata,"a",@progbits
	.p2align	6, 0x0
	.amdhsa_kernel _ZN9rocsparseL30kernel_count_missing_diagonal2IL20rocsparse_fill_mode_1ELj1024EiiEEvT2_PKT1_PKS2_21rocsparse_index_base_PS2_Pi
		.amdhsa_group_segment_fixed_size 0
		.amdhsa_private_segment_fixed_size 0
		.amdhsa_kernarg_size 48
		.amdhsa_user_sgpr_count 2
		.amdhsa_user_sgpr_dispatch_ptr 0
		.amdhsa_user_sgpr_queue_ptr 0
		.amdhsa_user_sgpr_kernarg_segment_ptr 1
		.amdhsa_user_sgpr_dispatch_id 0
		.amdhsa_user_sgpr_kernarg_preload_length 0
		.amdhsa_user_sgpr_kernarg_preload_offset 0
		.amdhsa_user_sgpr_private_segment_size 0
		.amdhsa_wavefront_size32 1
		.amdhsa_uses_dynamic_stack 0
		.amdhsa_enable_private_segment 0
		.amdhsa_system_sgpr_workgroup_id_x 1
		.amdhsa_system_sgpr_workgroup_id_y 0
		.amdhsa_system_sgpr_workgroup_id_z 0
		.amdhsa_system_sgpr_workgroup_info 0
		.amdhsa_system_vgpr_workitem_id 0
		.amdhsa_next_free_vgpr 2
		.amdhsa_next_free_sgpr 12
		.amdhsa_named_barrier_count 0
		.amdhsa_reserve_vcc 1
		.amdhsa_float_round_mode_32 0
		.amdhsa_float_round_mode_16_64 0
		.amdhsa_float_denorm_mode_32 3
		.amdhsa_float_denorm_mode_16_64 3
		.amdhsa_fp16_overflow 0
		.amdhsa_memory_ordered 1
		.amdhsa_forward_progress 1
		.amdhsa_inst_pref_size 3
		.amdhsa_round_robin_scheduling 0
		.amdhsa_exception_fp_ieee_invalid_op 0
		.amdhsa_exception_fp_denorm_src 0
		.amdhsa_exception_fp_ieee_div_zero 0
		.amdhsa_exception_fp_ieee_overflow 0
		.amdhsa_exception_fp_ieee_underflow 0
		.amdhsa_exception_fp_ieee_inexact 0
		.amdhsa_exception_int_div_zero 0
	.end_amdhsa_kernel
	.section	.text._ZN9rocsparseL30kernel_count_missing_diagonal2IL20rocsparse_fill_mode_1ELj1024EiiEEvT2_PKT1_PKS2_21rocsparse_index_base_PS2_Pi,"axG",@progbits,_ZN9rocsparseL30kernel_count_missing_diagonal2IL20rocsparse_fill_mode_1ELj1024EiiEEvT2_PKT1_PKS2_21rocsparse_index_base_PS2_Pi,comdat
.Lfunc_end4:
	.size	_ZN9rocsparseL30kernel_count_missing_diagonal2IL20rocsparse_fill_mode_1ELj1024EiiEEvT2_PKT1_PKS2_21rocsparse_index_base_PS2_Pi, .Lfunc_end4-_ZN9rocsparseL30kernel_count_missing_diagonal2IL20rocsparse_fill_mode_1ELj1024EiiEEvT2_PKT1_PKS2_21rocsparse_index_base_PS2_Pi
                                        ; -- End function
	.set _ZN9rocsparseL30kernel_count_missing_diagonal2IL20rocsparse_fill_mode_1ELj1024EiiEEvT2_PKT1_PKS2_21rocsparse_index_base_PS2_Pi.num_vgpr, 2
	.set _ZN9rocsparseL30kernel_count_missing_diagonal2IL20rocsparse_fill_mode_1ELj1024EiiEEvT2_PKT1_PKS2_21rocsparse_index_base_PS2_Pi.num_agpr, 0
	.set _ZN9rocsparseL30kernel_count_missing_diagonal2IL20rocsparse_fill_mode_1ELj1024EiiEEvT2_PKT1_PKS2_21rocsparse_index_base_PS2_Pi.numbered_sgpr, 12
	.set _ZN9rocsparseL30kernel_count_missing_diagonal2IL20rocsparse_fill_mode_1ELj1024EiiEEvT2_PKT1_PKS2_21rocsparse_index_base_PS2_Pi.num_named_barrier, 0
	.set _ZN9rocsparseL30kernel_count_missing_diagonal2IL20rocsparse_fill_mode_1ELj1024EiiEEvT2_PKT1_PKS2_21rocsparse_index_base_PS2_Pi.private_seg_size, 0
	.set _ZN9rocsparseL30kernel_count_missing_diagonal2IL20rocsparse_fill_mode_1ELj1024EiiEEvT2_PKT1_PKS2_21rocsparse_index_base_PS2_Pi.uses_vcc, 1
	.set _ZN9rocsparseL30kernel_count_missing_diagonal2IL20rocsparse_fill_mode_1ELj1024EiiEEvT2_PKT1_PKS2_21rocsparse_index_base_PS2_Pi.uses_flat_scratch, 0
	.set _ZN9rocsparseL30kernel_count_missing_diagonal2IL20rocsparse_fill_mode_1ELj1024EiiEEvT2_PKT1_PKS2_21rocsparse_index_base_PS2_Pi.has_dyn_sized_stack, 0
	.set _ZN9rocsparseL30kernel_count_missing_diagonal2IL20rocsparse_fill_mode_1ELj1024EiiEEvT2_PKT1_PKS2_21rocsparse_index_base_PS2_Pi.has_recursion, 0
	.set _ZN9rocsparseL30kernel_count_missing_diagonal2IL20rocsparse_fill_mode_1ELj1024EiiEEvT2_PKT1_PKS2_21rocsparse_index_base_PS2_Pi.has_indirect_call, 0
	.section	.AMDGPU.csdata,"",@progbits
; Kernel info:
; codeLenInByte = 352
; TotalNumSgprs: 14
; NumVgprs: 2
; ScratchSize: 0
; MemoryBound: 0
; FloatMode: 240
; IeeeMode: 1
; LDSByteSize: 0 bytes/workgroup (compile time only)
; SGPRBlocks: 0
; VGPRBlocks: 0
; NumSGPRsForWavesPerEU: 14
; NumVGPRsForWavesPerEU: 2
; NamedBarCnt: 0
; Occupancy: 16
; WaveLimiterHint : 1
; COMPUTE_PGM_RSRC2:SCRATCH_EN: 0
; COMPUTE_PGM_RSRC2:USER_SGPR: 2
; COMPUTE_PGM_RSRC2:TRAP_HANDLER: 0
; COMPUTE_PGM_RSRC2:TGID_X_EN: 1
; COMPUTE_PGM_RSRC2:TGID_Y_EN: 0
; COMPUTE_PGM_RSRC2:TGID_Z_EN: 0
; COMPUTE_PGM_RSRC2:TIDIG_COMP_CNT: 0
	.section	.text._ZN9rocsparseL32kernel_count_diagonal_triangularIL20rocsparse_fill_mode_0ELj1024EiiEEvT2_PKT1_PKS2_21rocsparse_index_base_PS2_,"axG",@progbits,_ZN9rocsparseL32kernel_count_diagonal_triangularIL20rocsparse_fill_mode_0ELj1024EiiEEvT2_PKT1_PKS2_21rocsparse_index_base_PS2_,comdat
	.globl	_ZN9rocsparseL32kernel_count_diagonal_triangularIL20rocsparse_fill_mode_0ELj1024EiiEEvT2_PKT1_PKS2_21rocsparse_index_base_PS2_ ; -- Begin function _ZN9rocsparseL32kernel_count_diagonal_triangularIL20rocsparse_fill_mode_0ELj1024EiiEEvT2_PKT1_PKS2_21rocsparse_index_base_PS2_
	.p2align	8
	.type	_ZN9rocsparseL32kernel_count_diagonal_triangularIL20rocsparse_fill_mode_0ELj1024EiiEEvT2_PKT1_PKS2_21rocsparse_index_base_PS2_,@function
_ZN9rocsparseL32kernel_count_diagonal_triangularIL20rocsparse_fill_mode_0ELj1024EiiEEvT2_PKT1_PKS2_21rocsparse_index_base_PS2_: ; @_ZN9rocsparseL32kernel_count_diagonal_triangularIL20rocsparse_fill_mode_0ELj1024EiiEEvT2_PKT1_PKS2_21rocsparse_index_base_PS2_
; %bb.0:
	s_load_b32 s2, s[0:1], 0x0
	s_bfe_u32 s3, ttmp6, 0x4000c
	s_and_b32 s4, ttmp6, 15
	s_add_co_i32 s3, s3, 1
	s_getreg_b32 s5, hwreg(HW_REG_IB_STS2, 6, 4)
	s_mul_i32 s3, ttmp9, s3
	s_delay_alu instid0(SALU_CYCLE_1) | instskip(SKIP_2) | instid1(SALU_CYCLE_1)
	s_add_co_i32 s4, s4, s3
	s_cmp_eq_u32 s5, 0
	s_cselect_b32 s3, ttmp9, s4
	v_lshl_or_b32 v0, s3, 10, v0
	s_wait_kmcnt 0x0
	s_delay_alu instid0(VALU_DEP_1)
	v_cmp_gt_i32_e32 vcc_lo, s2, v0
	s_and_saveexec_b32 s2, vcc_lo
	s_cbranch_execz .LBB5_4
; %bb.1:
	s_clause 0x1
	s_load_b128 s[4:7], s[0:1], 0x8
	s_load_b32 s2, s[0:1], 0x18
	s_wait_kmcnt 0x0
	global_load_b32 v1, v0, s[4:5] offset:4 scale_offset
	s_wait_loadcnt 0x0
	v_xad_u32 v1, s2, -1, v1
	global_load_b32 v1, v1, s[6:7] scale_offset
	s_wait_loadcnt 0x0
	v_subrev_nc_u32_e32 v1, s2, v1
	s_delay_alu instid0(VALU_DEP_1)
	v_cmp_eq_u32_e32 vcc_lo, v1, v0
	s_and_b32 exec_lo, exec_lo, vcc_lo
	s_cbranch_execz .LBB5_4
; %bb.2:
	s_mov_b32 s2, exec_lo
	s_delay_alu instid0(SALU_CYCLE_1) | instskip(NEXT) | instid1(VALU_DEP_1)
	v_mbcnt_lo_u32_b32 v0, s2, 0
	v_cmp_eq_u32_e32 vcc_lo, 0, v0
	s_and_b32 s3, exec_lo, vcc_lo
	s_delay_alu instid0(SALU_CYCLE_1)
	s_mov_b32 exec_lo, s3
	s_cbranch_execz .LBB5_4
; %bb.3:
	s_load_b64 s[0:1], s[0:1], 0x20
	s_bcnt1_i32_b32 s2, s2
	s_delay_alu instid0(SALU_CYCLE_1)
	v_dual_mov_b32 v0, 0 :: v_dual_mov_b32 v1, s2
	s_wait_xcnt 0x0
	s_wait_kmcnt 0x0
	global_atomic_add_u32 v0, v1, s[0:1] scope:SCOPE_DEV
.LBB5_4:
	s_endpgm
	.section	.rodata,"a",@progbits
	.p2align	6, 0x0
	.amdhsa_kernel _ZN9rocsparseL32kernel_count_diagonal_triangularIL20rocsparse_fill_mode_0ELj1024EiiEEvT2_PKT1_PKS2_21rocsparse_index_base_PS2_
		.amdhsa_group_segment_fixed_size 0
		.amdhsa_private_segment_fixed_size 0
		.amdhsa_kernarg_size 40
		.amdhsa_user_sgpr_count 2
		.amdhsa_user_sgpr_dispatch_ptr 0
		.amdhsa_user_sgpr_queue_ptr 0
		.amdhsa_user_sgpr_kernarg_segment_ptr 1
		.amdhsa_user_sgpr_dispatch_id 0
		.amdhsa_user_sgpr_kernarg_preload_length 0
		.amdhsa_user_sgpr_kernarg_preload_offset 0
		.amdhsa_user_sgpr_private_segment_size 0
		.amdhsa_wavefront_size32 1
		.amdhsa_uses_dynamic_stack 0
		.amdhsa_enable_private_segment 0
		.amdhsa_system_sgpr_workgroup_id_x 1
		.amdhsa_system_sgpr_workgroup_id_y 0
		.amdhsa_system_sgpr_workgroup_id_z 0
		.amdhsa_system_sgpr_workgroup_info 0
		.amdhsa_system_vgpr_workitem_id 0
		.amdhsa_next_free_vgpr 2
		.amdhsa_next_free_sgpr 8
		.amdhsa_named_barrier_count 0
		.amdhsa_reserve_vcc 1
		.amdhsa_float_round_mode_32 0
		.amdhsa_float_round_mode_16_64 0
		.amdhsa_float_denorm_mode_32 3
		.amdhsa_float_denorm_mode_16_64 3
		.amdhsa_fp16_overflow 0
		.amdhsa_memory_ordered 1
		.amdhsa_forward_progress 1
		.amdhsa_inst_pref_size 2
		.amdhsa_round_robin_scheduling 0
		.amdhsa_exception_fp_ieee_invalid_op 0
		.amdhsa_exception_fp_denorm_src 0
		.amdhsa_exception_fp_ieee_div_zero 0
		.amdhsa_exception_fp_ieee_overflow 0
		.amdhsa_exception_fp_ieee_underflow 0
		.amdhsa_exception_fp_ieee_inexact 0
		.amdhsa_exception_int_div_zero 0
	.end_amdhsa_kernel
	.section	.text._ZN9rocsparseL32kernel_count_diagonal_triangularIL20rocsparse_fill_mode_0ELj1024EiiEEvT2_PKT1_PKS2_21rocsparse_index_base_PS2_,"axG",@progbits,_ZN9rocsparseL32kernel_count_diagonal_triangularIL20rocsparse_fill_mode_0ELj1024EiiEEvT2_PKT1_PKS2_21rocsparse_index_base_PS2_,comdat
.Lfunc_end5:
	.size	_ZN9rocsparseL32kernel_count_diagonal_triangularIL20rocsparse_fill_mode_0ELj1024EiiEEvT2_PKT1_PKS2_21rocsparse_index_base_PS2_, .Lfunc_end5-_ZN9rocsparseL32kernel_count_diagonal_triangularIL20rocsparse_fill_mode_0ELj1024EiiEEvT2_PKT1_PKS2_21rocsparse_index_base_PS2_
                                        ; -- End function
	.set _ZN9rocsparseL32kernel_count_diagonal_triangularIL20rocsparse_fill_mode_0ELj1024EiiEEvT2_PKT1_PKS2_21rocsparse_index_base_PS2_.num_vgpr, 2
	.set _ZN9rocsparseL32kernel_count_diagonal_triangularIL20rocsparse_fill_mode_0ELj1024EiiEEvT2_PKT1_PKS2_21rocsparse_index_base_PS2_.num_agpr, 0
	.set _ZN9rocsparseL32kernel_count_diagonal_triangularIL20rocsparse_fill_mode_0ELj1024EiiEEvT2_PKT1_PKS2_21rocsparse_index_base_PS2_.numbered_sgpr, 8
	.set _ZN9rocsparseL32kernel_count_diagonal_triangularIL20rocsparse_fill_mode_0ELj1024EiiEEvT2_PKT1_PKS2_21rocsparse_index_base_PS2_.num_named_barrier, 0
	.set _ZN9rocsparseL32kernel_count_diagonal_triangularIL20rocsparse_fill_mode_0ELj1024EiiEEvT2_PKT1_PKS2_21rocsparse_index_base_PS2_.private_seg_size, 0
	.set _ZN9rocsparseL32kernel_count_diagonal_triangularIL20rocsparse_fill_mode_0ELj1024EiiEEvT2_PKT1_PKS2_21rocsparse_index_base_PS2_.uses_vcc, 1
	.set _ZN9rocsparseL32kernel_count_diagonal_triangularIL20rocsparse_fill_mode_0ELj1024EiiEEvT2_PKT1_PKS2_21rocsparse_index_base_PS2_.uses_flat_scratch, 0
	.set _ZN9rocsparseL32kernel_count_diagonal_triangularIL20rocsparse_fill_mode_0ELj1024EiiEEvT2_PKT1_PKS2_21rocsparse_index_base_PS2_.has_dyn_sized_stack, 0
	.set _ZN9rocsparseL32kernel_count_diagonal_triangularIL20rocsparse_fill_mode_0ELj1024EiiEEvT2_PKT1_PKS2_21rocsparse_index_base_PS2_.has_recursion, 0
	.set _ZN9rocsparseL32kernel_count_diagonal_triangularIL20rocsparse_fill_mode_0ELj1024EiiEEvT2_PKT1_PKS2_21rocsparse_index_base_PS2_.has_indirect_call, 0
	.section	.AMDGPU.csdata,"",@progbits
; Kernel info:
; codeLenInByte = 244
; TotalNumSgprs: 10
; NumVgprs: 2
; ScratchSize: 0
; MemoryBound: 0
; FloatMode: 240
; IeeeMode: 1
; LDSByteSize: 0 bytes/workgroup (compile time only)
; SGPRBlocks: 0
; VGPRBlocks: 0
; NumSGPRsForWavesPerEU: 10
; NumVGPRsForWavesPerEU: 2
; NamedBarCnt: 0
; Occupancy: 16
; WaveLimiterHint : 1
; COMPUTE_PGM_RSRC2:SCRATCH_EN: 0
; COMPUTE_PGM_RSRC2:USER_SGPR: 2
; COMPUTE_PGM_RSRC2:TRAP_HANDLER: 0
; COMPUTE_PGM_RSRC2:TGID_X_EN: 1
; COMPUTE_PGM_RSRC2:TGID_Y_EN: 0
; COMPUTE_PGM_RSRC2:TGID_Z_EN: 0
; COMPUTE_PGM_RSRC2:TIDIG_COMP_CNT: 0
	.section	.text._ZN9rocsparseL32kernel_count_diagonal_triangularIL20rocsparse_fill_mode_1ELj1024EiiEEvT2_PKT1_PKS2_21rocsparse_index_base_PS2_,"axG",@progbits,_ZN9rocsparseL32kernel_count_diagonal_triangularIL20rocsparse_fill_mode_1ELj1024EiiEEvT2_PKT1_PKS2_21rocsparse_index_base_PS2_,comdat
	.globl	_ZN9rocsparseL32kernel_count_diagonal_triangularIL20rocsparse_fill_mode_1ELj1024EiiEEvT2_PKT1_PKS2_21rocsparse_index_base_PS2_ ; -- Begin function _ZN9rocsparseL32kernel_count_diagonal_triangularIL20rocsparse_fill_mode_1ELj1024EiiEEvT2_PKT1_PKS2_21rocsparse_index_base_PS2_
	.p2align	8
	.type	_ZN9rocsparseL32kernel_count_diagonal_triangularIL20rocsparse_fill_mode_1ELj1024EiiEEvT2_PKT1_PKS2_21rocsparse_index_base_PS2_,@function
_ZN9rocsparseL32kernel_count_diagonal_triangularIL20rocsparse_fill_mode_1ELj1024EiiEEvT2_PKT1_PKS2_21rocsparse_index_base_PS2_: ; @_ZN9rocsparseL32kernel_count_diagonal_triangularIL20rocsparse_fill_mode_1ELj1024EiiEEvT2_PKT1_PKS2_21rocsparse_index_base_PS2_
; %bb.0:
	s_load_b32 s2, s[0:1], 0x0
	s_bfe_u32 s3, ttmp6, 0x4000c
	s_and_b32 s4, ttmp6, 15
	s_add_co_i32 s3, s3, 1
	s_getreg_b32 s5, hwreg(HW_REG_IB_STS2, 6, 4)
	s_mul_i32 s3, ttmp9, s3
	s_delay_alu instid0(SALU_CYCLE_1) | instskip(SKIP_2) | instid1(SALU_CYCLE_1)
	s_add_co_i32 s4, s4, s3
	s_cmp_eq_u32 s5, 0
	s_cselect_b32 s3, ttmp9, s4
	v_lshl_or_b32 v0, s3, 10, v0
	s_wait_kmcnt 0x0
	s_delay_alu instid0(VALU_DEP_1)
	v_cmp_gt_i32_e32 vcc_lo, s2, v0
	s_and_saveexec_b32 s2, vcc_lo
	s_cbranch_execz .LBB6_4
; %bb.1:
	s_clause 0x1
	s_load_b128 s[4:7], s[0:1], 0x8
	s_load_b32 s2, s[0:1], 0x18
	s_wait_kmcnt 0x0
	global_load_b32 v1, v0, s[4:5] scale_offset
	s_wait_loadcnt 0x0
	v_subrev_nc_u32_e32 v1, s2, v1
	global_load_b32 v1, v1, s[6:7] scale_offset
	s_wait_loadcnt 0x0
	v_subrev_nc_u32_e32 v1, s2, v1
	s_delay_alu instid0(VALU_DEP_1)
	v_cmp_eq_u32_e32 vcc_lo, v1, v0
	s_and_b32 exec_lo, exec_lo, vcc_lo
	s_cbranch_execz .LBB6_4
; %bb.2:
	s_mov_b32 s2, exec_lo
	s_delay_alu instid0(SALU_CYCLE_1) | instskip(NEXT) | instid1(VALU_DEP_1)
	v_mbcnt_lo_u32_b32 v0, s2, 0
	v_cmp_eq_u32_e32 vcc_lo, 0, v0
	s_and_b32 s3, exec_lo, vcc_lo
	s_delay_alu instid0(SALU_CYCLE_1)
	s_mov_b32 exec_lo, s3
	s_cbranch_execz .LBB6_4
; %bb.3:
	s_load_b64 s[0:1], s[0:1], 0x20
	s_bcnt1_i32_b32 s2, s2
	s_delay_alu instid0(SALU_CYCLE_1)
	v_dual_mov_b32 v0, 0 :: v_dual_mov_b32 v1, s2
	s_wait_xcnt 0x0
	s_wait_kmcnt 0x0
	global_atomic_add_u32 v0, v1, s[0:1] scope:SCOPE_DEV
.LBB6_4:
	s_endpgm
	.section	.rodata,"a",@progbits
	.p2align	6, 0x0
	.amdhsa_kernel _ZN9rocsparseL32kernel_count_diagonal_triangularIL20rocsparse_fill_mode_1ELj1024EiiEEvT2_PKT1_PKS2_21rocsparse_index_base_PS2_
		.amdhsa_group_segment_fixed_size 0
		.amdhsa_private_segment_fixed_size 0
		.amdhsa_kernarg_size 40
		.amdhsa_user_sgpr_count 2
		.amdhsa_user_sgpr_dispatch_ptr 0
		.amdhsa_user_sgpr_queue_ptr 0
		.amdhsa_user_sgpr_kernarg_segment_ptr 1
		.amdhsa_user_sgpr_dispatch_id 0
		.amdhsa_user_sgpr_kernarg_preload_length 0
		.amdhsa_user_sgpr_kernarg_preload_offset 0
		.amdhsa_user_sgpr_private_segment_size 0
		.amdhsa_wavefront_size32 1
		.amdhsa_uses_dynamic_stack 0
		.amdhsa_enable_private_segment 0
		.amdhsa_system_sgpr_workgroup_id_x 1
		.amdhsa_system_sgpr_workgroup_id_y 0
		.amdhsa_system_sgpr_workgroup_id_z 0
		.amdhsa_system_sgpr_workgroup_info 0
		.amdhsa_system_vgpr_workitem_id 0
		.amdhsa_next_free_vgpr 2
		.amdhsa_next_free_sgpr 8
		.amdhsa_named_barrier_count 0
		.amdhsa_reserve_vcc 1
		.amdhsa_float_round_mode_32 0
		.amdhsa_float_round_mode_16_64 0
		.amdhsa_float_denorm_mode_32 3
		.amdhsa_float_denorm_mode_16_64 3
		.amdhsa_fp16_overflow 0
		.amdhsa_memory_ordered 1
		.amdhsa_forward_progress 1
		.amdhsa_inst_pref_size 2
		.amdhsa_round_robin_scheduling 0
		.amdhsa_exception_fp_ieee_invalid_op 0
		.amdhsa_exception_fp_denorm_src 0
		.amdhsa_exception_fp_ieee_div_zero 0
		.amdhsa_exception_fp_ieee_overflow 0
		.amdhsa_exception_fp_ieee_underflow 0
		.amdhsa_exception_fp_ieee_inexact 0
		.amdhsa_exception_int_div_zero 0
	.end_amdhsa_kernel
	.section	.text._ZN9rocsparseL32kernel_count_diagonal_triangularIL20rocsparse_fill_mode_1ELj1024EiiEEvT2_PKT1_PKS2_21rocsparse_index_base_PS2_,"axG",@progbits,_ZN9rocsparseL32kernel_count_diagonal_triangularIL20rocsparse_fill_mode_1ELj1024EiiEEvT2_PKT1_PKS2_21rocsparse_index_base_PS2_,comdat
.Lfunc_end6:
	.size	_ZN9rocsparseL32kernel_count_diagonal_triangularIL20rocsparse_fill_mode_1ELj1024EiiEEvT2_PKT1_PKS2_21rocsparse_index_base_PS2_, .Lfunc_end6-_ZN9rocsparseL32kernel_count_diagonal_triangularIL20rocsparse_fill_mode_1ELj1024EiiEEvT2_PKT1_PKS2_21rocsparse_index_base_PS2_
                                        ; -- End function
	.set _ZN9rocsparseL32kernel_count_diagonal_triangularIL20rocsparse_fill_mode_1ELj1024EiiEEvT2_PKT1_PKS2_21rocsparse_index_base_PS2_.num_vgpr, 2
	.set _ZN9rocsparseL32kernel_count_diagonal_triangularIL20rocsparse_fill_mode_1ELj1024EiiEEvT2_PKT1_PKS2_21rocsparse_index_base_PS2_.num_agpr, 0
	.set _ZN9rocsparseL32kernel_count_diagonal_triangularIL20rocsparse_fill_mode_1ELj1024EiiEEvT2_PKT1_PKS2_21rocsparse_index_base_PS2_.numbered_sgpr, 8
	.set _ZN9rocsparseL32kernel_count_diagonal_triangularIL20rocsparse_fill_mode_1ELj1024EiiEEvT2_PKT1_PKS2_21rocsparse_index_base_PS2_.num_named_barrier, 0
	.set _ZN9rocsparseL32kernel_count_diagonal_triangularIL20rocsparse_fill_mode_1ELj1024EiiEEvT2_PKT1_PKS2_21rocsparse_index_base_PS2_.private_seg_size, 0
	.set _ZN9rocsparseL32kernel_count_diagonal_triangularIL20rocsparse_fill_mode_1ELj1024EiiEEvT2_PKT1_PKS2_21rocsparse_index_base_PS2_.uses_vcc, 1
	.set _ZN9rocsparseL32kernel_count_diagonal_triangularIL20rocsparse_fill_mode_1ELj1024EiiEEvT2_PKT1_PKS2_21rocsparse_index_base_PS2_.uses_flat_scratch, 0
	.set _ZN9rocsparseL32kernel_count_diagonal_triangularIL20rocsparse_fill_mode_1ELj1024EiiEEvT2_PKT1_PKS2_21rocsparse_index_base_PS2_.has_dyn_sized_stack, 0
	.set _ZN9rocsparseL32kernel_count_diagonal_triangularIL20rocsparse_fill_mode_1ELj1024EiiEEvT2_PKT1_PKS2_21rocsparse_index_base_PS2_.has_recursion, 0
	.set _ZN9rocsparseL32kernel_count_diagonal_triangularIL20rocsparse_fill_mode_1ELj1024EiiEEvT2_PKT1_PKS2_21rocsparse_index_base_PS2_.has_indirect_call, 0
	.section	.AMDGPU.csdata,"",@progbits
; Kernel info:
; codeLenInByte = 240
; TotalNumSgprs: 10
; NumVgprs: 2
; ScratchSize: 0
; MemoryBound: 0
; FloatMode: 240
; IeeeMode: 1
; LDSByteSize: 0 bytes/workgroup (compile time only)
; SGPRBlocks: 0
; VGPRBlocks: 0
; NumSGPRsForWavesPerEU: 10
; NumVGPRsForWavesPerEU: 2
; NamedBarCnt: 0
; Occupancy: 16
; WaveLimiterHint : 1
; COMPUTE_PGM_RSRC2:SCRATCH_EN: 0
; COMPUTE_PGM_RSRC2:USER_SGPR: 2
; COMPUTE_PGM_RSRC2:TRAP_HANDLER: 0
; COMPUTE_PGM_RSRC2:TGID_X_EN: 1
; COMPUTE_PGM_RSRC2:TGID_Y_EN: 0
; COMPUTE_PGM_RSRC2:TGID_Z_EN: 0
; COMPUTE_PGM_RSRC2:TIDIG_COMP_CNT: 0
	.section	.text._ZN9rocsparseL19kernel_ptr_end_unitILj1024EliEEvT1_PKT0_PKS1_PS2_21rocsparse_index_base_,"axG",@progbits,_ZN9rocsparseL19kernel_ptr_end_unitILj1024EliEEvT1_PKT0_PKS1_PS2_21rocsparse_index_base_,comdat
	.globl	_ZN9rocsparseL19kernel_ptr_end_unitILj1024EliEEvT1_PKT0_PKS1_PS2_21rocsparse_index_base_ ; -- Begin function _ZN9rocsparseL19kernel_ptr_end_unitILj1024EliEEvT1_PKT0_PKS1_PS2_21rocsparse_index_base_
	.p2align	8
	.type	_ZN9rocsparseL19kernel_ptr_end_unitILj1024EliEEvT1_PKT0_PKS1_PS2_21rocsparse_index_base_,@function
_ZN9rocsparseL19kernel_ptr_end_unitILj1024EliEEvT1_PKT0_PKS1_PS2_21rocsparse_index_base_: ; @_ZN9rocsparseL19kernel_ptr_end_unitILj1024EliEEvT1_PKT0_PKS1_PS2_21rocsparse_index_base_
; %bb.0:
	s_load_b32 s2, s[0:1], 0x0
	s_bfe_u32 s3, ttmp6, 0x4000c
	s_and_b32 s4, ttmp6, 15
	s_add_co_i32 s3, s3, 1
	s_getreg_b32 s5, hwreg(HW_REG_IB_STS2, 6, 4)
	s_mul_i32 s3, ttmp9, s3
	s_delay_alu instid0(SALU_CYCLE_1) | instskip(SKIP_2) | instid1(SALU_CYCLE_1)
	s_add_co_i32 s4, s4, s3
	s_cmp_eq_u32 s5, 0
	s_cselect_b32 s3, ttmp9, s4
	v_lshl_or_b32 v4, s3, 10, v0
	s_wait_kmcnt 0x0
	s_delay_alu instid0(VALU_DEP_1)
	v_cmp_gt_i32_e32 vcc_lo, s2, v4
	s_and_saveexec_b32 s2, vcc_lo
	s_cbranch_execz .LBB7_8
; %bb.1:
	s_clause 0x1
	s_load_b64 s[2:3], s[0:1], 0x8
	s_load_b64 s[4:5], s[0:1], 0x18
	v_ashrrev_i32_e32 v5, 31, v4
	s_delay_alu instid0(VALU_DEP_1) | instskip(SKIP_1) | instid1(VALU_DEP_1)
	v_lshlrev_b64_e32 v[6:7], 3, v[4:5]
	s_wait_kmcnt 0x0
	v_add_nc_u64_e32 v[0:1], s[2:3], v[6:7]
	global_load_b128 v[0:3], v[0:1], off
	s_wait_loadcnt 0x0
	v_cmp_lt_i64_e32 vcc_lo, v[0:1], v[2:3]
	global_store_b64 v4, v[2:3], s[4:5] scale_offset
	s_wait_xcnt 0x0
	s_and_b32 exec_lo, exec_lo, vcc_lo
	s_cbranch_execz .LBB7_8
; %bb.2:
	s_clause 0x1
	s_load_b32 s2, s[0:1], 0x20
	s_load_b64 s[6:7], s[0:1], 0x10
	v_lshlrev_b64_e32 v[8:9], 2, v[0:1]
	s_mov_b32 s3, 0
	v_add_nc_u64_e32 v[6:7], s[4:5], v[6:7]
                                        ; implicit-def: $sgpr5
                                        ; implicit-def: $sgpr4
	s_wait_kmcnt 0x0
	s_lshl_b64 s[0:1], s[2:3], 2
	v_sub_nc_u64_e64 v[2:3], v[2:3], s[2:3]
	s_delay_alu instid0(VALU_DEP_3) | instskip(SKIP_2) | instid1(VALU_DEP_2)
	v_sub_nc_u64_e64 v[10:11], v[8:9], s[0:1]
	v_sub_nc_u64_e64 v[8:9], v[0:1], s[2:3]
	s_mov_b32 s0, s3
                                        ; implicit-def: $sgpr1
	v_add_nc_u64_e32 v[0:1], s[6:7], v[10:11]
	s_branch .LBB7_4
.LBB7_3:                                ;   in Loop: Header=BB7_4 Depth=1
	s_or_b32 exec_lo, exec_lo, s6
	s_delay_alu instid0(SALU_CYCLE_1) | instskip(NEXT) | instid1(SALU_CYCLE_1)
	s_and_b32 s6, exec_lo, s5
	s_or_b32 s0, s6, s0
	s_and_not1_b32 s1, s1, exec_lo
	s_and_b32 s6, s4, exec_lo
	s_delay_alu instid0(SALU_CYCLE_1)
	s_or_b32 s1, s1, s6
	s_and_not1_b32 exec_lo, exec_lo, s0
	s_cbranch_execz .LBB7_6
.LBB7_4:                                ; =>This Inner Loop Header: Depth=1
	global_load_b32 v5, v[0:1], off
	v_mov_b64_e32 v[10:11], v[8:9]
	s_or_b32 s4, s4, exec_lo
	s_or_b32 s5, s5, exec_lo
	s_mov_b32 s6, exec_lo
                                        ; implicit-def: $vgpr8_vgpr9
	s_wait_loadcnt 0x0
	v_subrev_nc_u32_e32 v5, s2, v5
	s_wait_xcnt 0x0
	s_delay_alu instid0(VALU_DEP_1)
	v_cmpx_lt_i32_e64 v5, v4
	s_cbranch_execz .LBB7_3
; %bb.5:                                ;   in Loop: Header=BB7_4 Depth=1
	v_add_nc_u64_e32 v[8:9], 1, v[10:11]
	v_add_nc_u64_e32 v[0:1], 4, v[0:1]
	s_and_not1_b32 s5, s5, exec_lo
	s_and_not1_b32 s4, s4, exec_lo
	s_delay_alu instid0(VALU_DEP_2) | instskip(SKIP_1) | instid1(SALU_CYCLE_1)
	v_cmp_ge_i64_e32 vcc_lo, v[8:9], v[2:3]
	s_and_b32 s7, vcc_lo, exec_lo
	s_or_b32 s5, s5, s7
	s_branch .LBB7_3
.LBB7_6:
	s_or_b32 exec_lo, exec_lo, s0
	s_and_saveexec_b32 s0, s1
	s_delay_alu instid0(SALU_CYCLE_1)
	s_xor_b32 s0, exec_lo, s0
	s_cbranch_execz .LBB7_8
; %bb.7:
	v_add_nc_u64_e32 v[0:1], s[2:3], v[10:11]
	global_store_b64 v[6:7], v[0:1], off
.LBB7_8:
	s_endpgm
	.section	.rodata,"a",@progbits
	.p2align	6, 0x0
	.amdhsa_kernel _ZN9rocsparseL19kernel_ptr_end_unitILj1024EliEEvT1_PKT0_PKS1_PS2_21rocsparse_index_base_
		.amdhsa_group_segment_fixed_size 0
		.amdhsa_private_segment_fixed_size 0
		.amdhsa_kernarg_size 36
		.amdhsa_user_sgpr_count 2
		.amdhsa_user_sgpr_dispatch_ptr 0
		.amdhsa_user_sgpr_queue_ptr 0
		.amdhsa_user_sgpr_kernarg_segment_ptr 1
		.amdhsa_user_sgpr_dispatch_id 0
		.amdhsa_user_sgpr_kernarg_preload_length 0
		.amdhsa_user_sgpr_kernarg_preload_offset 0
		.amdhsa_user_sgpr_private_segment_size 0
		.amdhsa_wavefront_size32 1
		.amdhsa_uses_dynamic_stack 0
		.amdhsa_enable_private_segment 0
		.amdhsa_system_sgpr_workgroup_id_x 1
		.amdhsa_system_sgpr_workgroup_id_y 0
		.amdhsa_system_sgpr_workgroup_id_z 0
		.amdhsa_system_sgpr_workgroup_info 0
		.amdhsa_system_vgpr_workitem_id 0
		.amdhsa_next_free_vgpr 12
		.amdhsa_next_free_sgpr 8
		.amdhsa_named_barrier_count 0
		.amdhsa_reserve_vcc 1
		.amdhsa_float_round_mode_32 0
		.amdhsa_float_round_mode_16_64 0
		.amdhsa_float_denorm_mode_32 3
		.amdhsa_float_denorm_mode_16_64 3
		.amdhsa_fp16_overflow 0
		.amdhsa_memory_ordered 1
		.amdhsa_forward_progress 1
		.amdhsa_inst_pref_size 4
		.amdhsa_round_robin_scheduling 0
		.amdhsa_exception_fp_ieee_invalid_op 0
		.amdhsa_exception_fp_denorm_src 0
		.amdhsa_exception_fp_ieee_div_zero 0
		.amdhsa_exception_fp_ieee_overflow 0
		.amdhsa_exception_fp_ieee_underflow 0
		.amdhsa_exception_fp_ieee_inexact 0
		.amdhsa_exception_int_div_zero 0
	.end_amdhsa_kernel
	.section	.text._ZN9rocsparseL19kernel_ptr_end_unitILj1024EliEEvT1_PKT0_PKS1_PS2_21rocsparse_index_base_,"axG",@progbits,_ZN9rocsparseL19kernel_ptr_end_unitILj1024EliEEvT1_PKT0_PKS1_PS2_21rocsparse_index_base_,comdat
.Lfunc_end7:
	.size	_ZN9rocsparseL19kernel_ptr_end_unitILj1024EliEEvT1_PKT0_PKS1_PS2_21rocsparse_index_base_, .Lfunc_end7-_ZN9rocsparseL19kernel_ptr_end_unitILj1024EliEEvT1_PKT0_PKS1_PS2_21rocsparse_index_base_
                                        ; -- End function
	.set _ZN9rocsparseL19kernel_ptr_end_unitILj1024EliEEvT1_PKT0_PKS1_PS2_21rocsparse_index_base_.num_vgpr, 12
	.set _ZN9rocsparseL19kernel_ptr_end_unitILj1024EliEEvT1_PKT0_PKS1_PS2_21rocsparse_index_base_.num_agpr, 0
	.set _ZN9rocsparseL19kernel_ptr_end_unitILj1024EliEEvT1_PKT0_PKS1_PS2_21rocsparse_index_base_.numbered_sgpr, 8
	.set _ZN9rocsparseL19kernel_ptr_end_unitILj1024EliEEvT1_PKT0_PKS1_PS2_21rocsparse_index_base_.num_named_barrier, 0
	.set _ZN9rocsparseL19kernel_ptr_end_unitILj1024EliEEvT1_PKT0_PKS1_PS2_21rocsparse_index_base_.private_seg_size, 0
	.set _ZN9rocsparseL19kernel_ptr_end_unitILj1024EliEEvT1_PKT0_PKS1_PS2_21rocsparse_index_base_.uses_vcc, 1
	.set _ZN9rocsparseL19kernel_ptr_end_unitILj1024EliEEvT1_PKT0_PKS1_PS2_21rocsparse_index_base_.uses_flat_scratch, 0
	.set _ZN9rocsparseL19kernel_ptr_end_unitILj1024EliEEvT1_PKT0_PKS1_PS2_21rocsparse_index_base_.has_dyn_sized_stack, 0
	.set _ZN9rocsparseL19kernel_ptr_end_unitILj1024EliEEvT1_PKT0_PKS1_PS2_21rocsparse_index_base_.has_recursion, 0
	.set _ZN9rocsparseL19kernel_ptr_end_unitILj1024EliEEvT1_PKT0_PKS1_PS2_21rocsparse_index_base_.has_indirect_call, 0
	.section	.AMDGPU.csdata,"",@progbits
; Kernel info:
; codeLenInByte = 412
; TotalNumSgprs: 10
; NumVgprs: 12
; ScratchSize: 0
; MemoryBound: 0
; FloatMode: 240
; IeeeMode: 1
; LDSByteSize: 0 bytes/workgroup (compile time only)
; SGPRBlocks: 0
; VGPRBlocks: 0
; NumSGPRsForWavesPerEU: 10
; NumVGPRsForWavesPerEU: 12
; NamedBarCnt: 0
; Occupancy: 16
; WaveLimiterHint : 0
; COMPUTE_PGM_RSRC2:SCRATCH_EN: 0
; COMPUTE_PGM_RSRC2:USER_SGPR: 2
; COMPUTE_PGM_RSRC2:TRAP_HANDLER: 0
; COMPUTE_PGM_RSRC2:TGID_X_EN: 1
; COMPUTE_PGM_RSRC2:TGID_Y_EN: 0
; COMPUTE_PGM_RSRC2:TGID_Z_EN: 0
; COMPUTE_PGM_RSRC2:TIDIG_COMP_CNT: 0
	.section	.text._ZN9rocsparseL23kernel_ptr_end_non_unitILj1024EliEEvT1_PKT0_PKS1_PS2_21rocsparse_index_base_,"axG",@progbits,_ZN9rocsparseL23kernel_ptr_end_non_unitILj1024EliEEvT1_PKT0_PKS1_PS2_21rocsparse_index_base_,comdat
	.globl	_ZN9rocsparseL23kernel_ptr_end_non_unitILj1024EliEEvT1_PKT0_PKS1_PS2_21rocsparse_index_base_ ; -- Begin function _ZN9rocsparseL23kernel_ptr_end_non_unitILj1024EliEEvT1_PKT0_PKS1_PS2_21rocsparse_index_base_
	.p2align	8
	.type	_ZN9rocsparseL23kernel_ptr_end_non_unitILj1024EliEEvT1_PKT0_PKS1_PS2_21rocsparse_index_base_,@function
_ZN9rocsparseL23kernel_ptr_end_non_unitILj1024EliEEvT1_PKT0_PKS1_PS2_21rocsparse_index_base_: ; @_ZN9rocsparseL23kernel_ptr_end_non_unitILj1024EliEEvT1_PKT0_PKS1_PS2_21rocsparse_index_base_
; %bb.0:
	s_load_b32 s2, s[0:1], 0x0
	s_bfe_u32 s3, ttmp6, 0x4000c
	s_and_b32 s4, ttmp6, 15
	s_add_co_i32 s3, s3, 1
	s_getreg_b32 s5, hwreg(HW_REG_IB_STS2, 6, 4)
	s_mul_i32 s3, ttmp9, s3
	s_delay_alu instid0(SALU_CYCLE_1) | instskip(SKIP_2) | instid1(SALU_CYCLE_1)
	s_add_co_i32 s4, s4, s3
	s_cmp_eq_u32 s5, 0
	s_cselect_b32 s3, ttmp9, s4
	v_lshl_or_b32 v4, s3, 10, v0
	s_wait_kmcnt 0x0
	s_delay_alu instid0(VALU_DEP_1)
	v_cmp_gt_u32_e32 vcc_lo, s2, v4
	s_and_saveexec_b32 s2, vcc_lo
	s_cbranch_execz .LBB8_8
; %bb.1:
	s_clause 0x1
	s_load_b64 s[2:3], s[0:1], 0x8
	s_load_b64 s[4:5], s[0:1], 0x18
	v_mov_b32_e32 v5, 0
	s_delay_alu instid0(VALU_DEP_1) | instskip(SKIP_1) | instid1(VALU_DEP_1)
	v_lshlrev_b64_e32 v[6:7], 3, v[4:5]
	s_wait_kmcnt 0x0
	v_add_nc_u64_e32 v[0:1], s[2:3], v[6:7]
	global_load_b128 v[0:3], v[0:1], off
	s_wait_loadcnt 0x0
	v_cmp_lt_i64_e32 vcc_lo, v[0:1], v[2:3]
	global_store_b64 v4, v[2:3], s[4:5] scale_offset
	s_wait_xcnt 0x0
	s_and_b32 exec_lo, exec_lo, vcc_lo
	s_cbranch_execz .LBB8_8
; %bb.2:
	s_clause 0x1
	s_load_b32 s2, s[0:1], 0x20
	s_load_b64 s[6:7], s[0:1], 0x10
	v_lshlrev_b64_e32 v[8:9], 2, v[0:1]
	s_mov_b32 s3, 0
	v_add_nc_u64_e32 v[6:7], s[4:5], v[6:7]
                                        ; implicit-def: $sgpr5
                                        ; implicit-def: $sgpr4
	s_wait_kmcnt 0x0
	s_lshl_b64 s[0:1], s[2:3], 2
	v_sub_nc_u64_e64 v[2:3], v[2:3], s[2:3]
	s_delay_alu instid0(VALU_DEP_3) | instskip(SKIP_2) | instid1(VALU_DEP_2)
	v_sub_nc_u64_e64 v[10:11], v[8:9], s[0:1]
	v_sub_nc_u64_e64 v[8:9], v[0:1], s[2:3]
	s_mov_b32 s0, s3
                                        ; implicit-def: $sgpr1
	v_add_nc_u64_e32 v[0:1], s[6:7], v[10:11]
	s_branch .LBB8_4
.LBB8_3:                                ;   in Loop: Header=BB8_4 Depth=1
	s_or_b32 exec_lo, exec_lo, s6
	s_delay_alu instid0(SALU_CYCLE_1) | instskip(NEXT) | instid1(SALU_CYCLE_1)
	s_and_b32 s6, exec_lo, s5
	s_or_b32 s0, s6, s0
	s_and_not1_b32 s1, s1, exec_lo
	s_and_b32 s6, s4, exec_lo
	s_delay_alu instid0(SALU_CYCLE_1)
	s_or_b32 s1, s1, s6
	s_and_not1_b32 exec_lo, exec_lo, s0
	s_cbranch_execz .LBB8_6
.LBB8_4:                                ; =>This Inner Loop Header: Depth=1
	global_load_b32 v5, v[0:1], off
	v_mov_b64_e32 v[10:11], v[8:9]
	s_or_b32 s4, s4, exec_lo
	s_or_b32 s5, s5, exec_lo
	s_mov_b32 s6, exec_lo
                                        ; implicit-def: $vgpr8_vgpr9
	s_wait_loadcnt 0x0
	v_subrev_nc_u32_e32 v5, s2, v5
	s_wait_xcnt 0x0
	s_delay_alu instid0(VALU_DEP_1)
	v_cmpx_le_u32_e64 v5, v4
	s_cbranch_execz .LBB8_3
; %bb.5:                                ;   in Loop: Header=BB8_4 Depth=1
	v_add_nc_u64_e32 v[8:9], 1, v[10:11]
	v_add_nc_u64_e32 v[0:1], 4, v[0:1]
	s_and_not1_b32 s5, s5, exec_lo
	s_and_not1_b32 s4, s4, exec_lo
	s_delay_alu instid0(VALU_DEP_2) | instskip(SKIP_1) | instid1(SALU_CYCLE_1)
	v_cmp_ge_i64_e32 vcc_lo, v[8:9], v[2:3]
	s_and_b32 s7, vcc_lo, exec_lo
	s_or_b32 s5, s5, s7
	s_branch .LBB8_3
.LBB8_6:
	s_or_b32 exec_lo, exec_lo, s0
	s_and_saveexec_b32 s0, s1
	s_delay_alu instid0(SALU_CYCLE_1)
	s_xor_b32 s0, exec_lo, s0
	s_cbranch_execz .LBB8_8
; %bb.7:
	v_add_nc_u64_e32 v[0:1], s[2:3], v[10:11]
	global_store_b64 v[6:7], v[0:1], off
.LBB8_8:
	s_endpgm
	.section	.rodata,"a",@progbits
	.p2align	6, 0x0
	.amdhsa_kernel _ZN9rocsparseL23kernel_ptr_end_non_unitILj1024EliEEvT1_PKT0_PKS1_PS2_21rocsparse_index_base_
		.amdhsa_group_segment_fixed_size 0
		.amdhsa_private_segment_fixed_size 0
		.amdhsa_kernarg_size 36
		.amdhsa_user_sgpr_count 2
		.amdhsa_user_sgpr_dispatch_ptr 0
		.amdhsa_user_sgpr_queue_ptr 0
		.amdhsa_user_sgpr_kernarg_segment_ptr 1
		.amdhsa_user_sgpr_dispatch_id 0
		.amdhsa_user_sgpr_kernarg_preload_length 0
		.amdhsa_user_sgpr_kernarg_preload_offset 0
		.amdhsa_user_sgpr_private_segment_size 0
		.amdhsa_wavefront_size32 1
		.amdhsa_uses_dynamic_stack 0
		.amdhsa_enable_private_segment 0
		.amdhsa_system_sgpr_workgroup_id_x 1
		.amdhsa_system_sgpr_workgroup_id_y 0
		.amdhsa_system_sgpr_workgroup_id_z 0
		.amdhsa_system_sgpr_workgroup_info 0
		.amdhsa_system_vgpr_workitem_id 0
		.amdhsa_next_free_vgpr 12
		.amdhsa_next_free_sgpr 8
		.amdhsa_named_barrier_count 0
		.amdhsa_reserve_vcc 1
		.amdhsa_float_round_mode_32 0
		.amdhsa_float_round_mode_16_64 0
		.amdhsa_float_denorm_mode_32 3
		.amdhsa_float_denorm_mode_16_64 3
		.amdhsa_fp16_overflow 0
		.amdhsa_memory_ordered 1
		.amdhsa_forward_progress 1
		.amdhsa_inst_pref_size 4
		.amdhsa_round_robin_scheduling 0
		.amdhsa_exception_fp_ieee_invalid_op 0
		.amdhsa_exception_fp_denorm_src 0
		.amdhsa_exception_fp_ieee_div_zero 0
		.amdhsa_exception_fp_ieee_overflow 0
		.amdhsa_exception_fp_ieee_underflow 0
		.amdhsa_exception_fp_ieee_inexact 0
		.amdhsa_exception_int_div_zero 0
	.end_amdhsa_kernel
	.section	.text._ZN9rocsparseL23kernel_ptr_end_non_unitILj1024EliEEvT1_PKT0_PKS1_PS2_21rocsparse_index_base_,"axG",@progbits,_ZN9rocsparseL23kernel_ptr_end_non_unitILj1024EliEEvT1_PKT0_PKS1_PS2_21rocsparse_index_base_,comdat
.Lfunc_end8:
	.size	_ZN9rocsparseL23kernel_ptr_end_non_unitILj1024EliEEvT1_PKT0_PKS1_PS2_21rocsparse_index_base_, .Lfunc_end8-_ZN9rocsparseL23kernel_ptr_end_non_unitILj1024EliEEvT1_PKT0_PKS1_PS2_21rocsparse_index_base_
                                        ; -- End function
	.set _ZN9rocsparseL23kernel_ptr_end_non_unitILj1024EliEEvT1_PKT0_PKS1_PS2_21rocsparse_index_base_.num_vgpr, 12
	.set _ZN9rocsparseL23kernel_ptr_end_non_unitILj1024EliEEvT1_PKT0_PKS1_PS2_21rocsparse_index_base_.num_agpr, 0
	.set _ZN9rocsparseL23kernel_ptr_end_non_unitILj1024EliEEvT1_PKT0_PKS1_PS2_21rocsparse_index_base_.numbered_sgpr, 8
	.set _ZN9rocsparseL23kernel_ptr_end_non_unitILj1024EliEEvT1_PKT0_PKS1_PS2_21rocsparse_index_base_.num_named_barrier, 0
	.set _ZN9rocsparseL23kernel_ptr_end_non_unitILj1024EliEEvT1_PKT0_PKS1_PS2_21rocsparse_index_base_.private_seg_size, 0
	.set _ZN9rocsparseL23kernel_ptr_end_non_unitILj1024EliEEvT1_PKT0_PKS1_PS2_21rocsparse_index_base_.uses_vcc, 1
	.set _ZN9rocsparseL23kernel_ptr_end_non_unitILj1024EliEEvT1_PKT0_PKS1_PS2_21rocsparse_index_base_.uses_flat_scratch, 0
	.set _ZN9rocsparseL23kernel_ptr_end_non_unitILj1024EliEEvT1_PKT0_PKS1_PS2_21rocsparse_index_base_.has_dyn_sized_stack, 0
	.set _ZN9rocsparseL23kernel_ptr_end_non_unitILj1024EliEEvT1_PKT0_PKS1_PS2_21rocsparse_index_base_.has_recursion, 0
	.set _ZN9rocsparseL23kernel_ptr_end_non_unitILj1024EliEEvT1_PKT0_PKS1_PS2_21rocsparse_index_base_.has_indirect_call, 0
	.section	.AMDGPU.csdata,"",@progbits
; Kernel info:
; codeLenInByte = 412
; TotalNumSgprs: 10
; NumVgprs: 12
; ScratchSize: 0
; MemoryBound: 0
; FloatMode: 240
; IeeeMode: 1
; LDSByteSize: 0 bytes/workgroup (compile time only)
; SGPRBlocks: 0
; VGPRBlocks: 0
; NumSGPRsForWavesPerEU: 10
; NumVGPRsForWavesPerEU: 12
; NamedBarCnt: 0
; Occupancy: 16
; WaveLimiterHint : 0
; COMPUTE_PGM_RSRC2:SCRATCH_EN: 0
; COMPUTE_PGM_RSRC2:USER_SGPR: 2
; COMPUTE_PGM_RSRC2:TRAP_HANDLER: 0
; COMPUTE_PGM_RSRC2:TGID_X_EN: 1
; COMPUTE_PGM_RSRC2:TGID_Y_EN: 0
; COMPUTE_PGM_RSRC2:TGID_Z_EN: 0
; COMPUTE_PGM_RSRC2:TIDIG_COMP_CNT: 0
	.section	.text._ZN9rocsparseL29kernel_count_missing_diagonalILj1024EliEEvT1_PKT0_S1_PKS1_21rocsparse_index_base_PS1_Pi,"axG",@progbits,_ZN9rocsparseL29kernel_count_missing_diagonalILj1024EliEEvT1_PKT0_S1_PKS1_21rocsparse_index_base_PS1_Pi,comdat
	.globl	_ZN9rocsparseL29kernel_count_missing_diagonalILj1024EliEEvT1_PKT0_S1_PKS1_21rocsparse_index_base_PS1_Pi ; -- Begin function _ZN9rocsparseL29kernel_count_missing_diagonalILj1024EliEEvT1_PKT0_S1_PKS1_21rocsparse_index_base_PS1_Pi
	.p2align	8
	.type	_ZN9rocsparseL29kernel_count_missing_diagonalILj1024EliEEvT1_PKT0_S1_PKS1_21rocsparse_index_base_PS1_Pi,@function
_ZN9rocsparseL29kernel_count_missing_diagonalILj1024EliEEvT1_PKT0_S1_PKS1_21rocsparse_index_base_PS1_Pi: ; @_ZN9rocsparseL29kernel_count_missing_diagonalILj1024EliEEvT1_PKT0_S1_PKS1_21rocsparse_index_base_PS1_Pi
; %bb.0:
	s_load_b32 s2, s[0:1], 0x0
	s_bfe_u32 s3, ttmp6, 0x4000c
	s_and_b32 s4, ttmp6, 15
	s_add_co_i32 s3, s3, 1
	s_getreg_b32 s5, hwreg(HW_REG_IB_STS2, 6, 4)
	s_mul_i32 s3, ttmp9, s3
	s_delay_alu instid0(SALU_CYCLE_1) | instskip(SKIP_2) | instid1(SALU_CYCLE_1)
	s_add_co_i32 s4, s4, s3
	s_cmp_eq_u32 s5, 0
	s_cselect_b32 s3, ttmp9, s4
	v_lshl_or_b32 v0, s3, 10, v0
	s_mov_b32 s3, 0
	s_wait_kmcnt 0x0
	s_delay_alu instid0(VALU_DEP_1)
	v_cmp_gt_i32_e32 vcc_lo, s2, v0
	s_and_saveexec_b32 s2, vcc_lo
	s_cbranch_execz .LBB9_8
; %bb.1:
	s_clause 0x1
	s_load_b96 s[4:6], s[0:1], 0x8
	s_load_b96 s[8:10], s[0:1], 0x18
	s_wait_kmcnt 0x0
	global_load_b64 v[2:3], v0, s[4:5] scale_offset
	s_mov_b32 s2, s10
	s_wait_loadcnt 0x0
	v_sub_nc_u64_e64 v[2:3], v[2:3], s[2:3]
	s_ashr_i32 s3, s6, 31
	s_mov_b32 s2, s6
	s_delay_alu instid0(VALU_DEP_1) | instskip(NEXT) | instid1(VALU_DEP_1)
	v_lshl_add_u64 v[2:3], v[2:3], 2, s[8:9]
	v_lshl_add_u64 v[2:3], s[2:3], 2, v[2:3]
	global_load_b32 v1, v[2:3], off
	s_wait_loadcnt 0x0
	v_subrev_nc_u32_e32 v1, s10, v1
	s_delay_alu instid0(VALU_DEP_1)
	v_cmp_ne_u32_e32 vcc_lo, v1, v0
	s_and_b32 exec_lo, exec_lo, vcc_lo
	s_cbranch_execz .LBB9_8
; %bb.2:
	s_load_b128 s[4:7], s[0:1], 0x28
	v_add_nc_u32_e32 v0, s10, v0
	s_mov_b32 s2, exec_lo
	s_wait_xcnt 0x0
	s_brev_b32 s0, -2
.LBB9_3:                                ; =>This Inner Loop Header: Depth=1
	s_ctz_i32_b32 s1, s2
	s_delay_alu instid0(SALU_CYCLE_1) | instskip(SKIP_1) | instid1(SALU_CYCLE_1)
	v_readlane_b32 s3, v0, s1
	s_lshl_b32 s1, 1, s1
	s_and_not1_b32 s2, s2, s1
	s_min_i32 s0, s0, s3
	s_cmp_lg_u32 s2, 0
	s_cbranch_scc1 .LBB9_3
; %bb.4:
	v_mbcnt_lo_u32_b32 v0, exec_lo, 0
	s_mov_b32 s1, exec_lo
	s_delay_alu instid0(VALU_DEP_1)
	v_cmpx_eq_u32_e32 0, v0
	s_xor_b32 s1, exec_lo, s1
	s_cbranch_execz .LBB9_6
; %bb.5:
	v_dual_mov_b32 v0, 0 :: v_dual_mov_b32 v1, s0
	s_wait_kmcnt 0x0
	global_atomic_min_i32 v0, v1, s[6:7] scope:SCOPE_DEV
.LBB9_6:
	s_wait_xcnt 0x0
	s_or_b32 exec_lo, exec_lo, s1
	s_delay_alu instid0(SALU_CYCLE_1) | instskip(NEXT) | instid1(SALU_CYCLE_1)
	s_mov_b32 s0, exec_lo
	v_mbcnt_lo_u32_b32 v0, s0, 0
	s_delay_alu instid0(VALU_DEP_1) | instskip(SKIP_1) | instid1(SALU_CYCLE_1)
	v_cmp_eq_u32_e32 vcc_lo, 0, v0
	s_and_b32 s1, exec_lo, vcc_lo
	s_mov_b32 exec_lo, s1
	s_cbranch_execz .LBB9_8
; %bb.7:
	s_bcnt1_i32_b32 s0, s0
	s_delay_alu instid0(SALU_CYCLE_1)
	v_dual_mov_b32 v0, 0 :: v_dual_mov_b32 v1, s0
	s_wait_kmcnt 0x0
	global_atomic_add_u32 v0, v1, s[4:5] scope:SCOPE_DEV
.LBB9_8:
	s_endpgm
	.section	.rodata,"a",@progbits
	.p2align	6, 0x0
	.amdhsa_kernel _ZN9rocsparseL29kernel_count_missing_diagonalILj1024EliEEvT1_PKT0_S1_PKS1_21rocsparse_index_base_PS1_Pi
		.amdhsa_group_segment_fixed_size 0
		.amdhsa_private_segment_fixed_size 0
		.amdhsa_kernarg_size 56
		.amdhsa_user_sgpr_count 2
		.amdhsa_user_sgpr_dispatch_ptr 0
		.amdhsa_user_sgpr_queue_ptr 0
		.amdhsa_user_sgpr_kernarg_segment_ptr 1
		.amdhsa_user_sgpr_dispatch_id 0
		.amdhsa_user_sgpr_kernarg_preload_length 0
		.amdhsa_user_sgpr_kernarg_preload_offset 0
		.amdhsa_user_sgpr_private_segment_size 0
		.amdhsa_wavefront_size32 1
		.amdhsa_uses_dynamic_stack 0
		.amdhsa_enable_private_segment 0
		.amdhsa_system_sgpr_workgroup_id_x 1
		.amdhsa_system_sgpr_workgroup_id_y 0
		.amdhsa_system_sgpr_workgroup_id_z 0
		.amdhsa_system_sgpr_workgroup_info 0
		.amdhsa_system_vgpr_workitem_id 0
		.amdhsa_next_free_vgpr 4
		.amdhsa_next_free_sgpr 11
		.amdhsa_named_barrier_count 0
		.amdhsa_reserve_vcc 1
		.amdhsa_float_round_mode_32 0
		.amdhsa_float_round_mode_16_64 0
		.amdhsa_float_denorm_mode_32 3
		.amdhsa_float_denorm_mode_16_64 3
		.amdhsa_fp16_overflow 0
		.amdhsa_memory_ordered 1
		.amdhsa_forward_progress 1
		.amdhsa_inst_pref_size 4
		.amdhsa_round_robin_scheduling 0
		.amdhsa_exception_fp_ieee_invalid_op 0
		.amdhsa_exception_fp_denorm_src 0
		.amdhsa_exception_fp_ieee_div_zero 0
		.amdhsa_exception_fp_ieee_overflow 0
		.amdhsa_exception_fp_ieee_underflow 0
		.amdhsa_exception_fp_ieee_inexact 0
		.amdhsa_exception_int_div_zero 0
	.end_amdhsa_kernel
	.section	.text._ZN9rocsparseL29kernel_count_missing_diagonalILj1024EliEEvT1_PKT0_S1_PKS1_21rocsparse_index_base_PS1_Pi,"axG",@progbits,_ZN9rocsparseL29kernel_count_missing_diagonalILj1024EliEEvT1_PKT0_S1_PKS1_21rocsparse_index_base_PS1_Pi,comdat
.Lfunc_end9:
	.size	_ZN9rocsparseL29kernel_count_missing_diagonalILj1024EliEEvT1_PKT0_S1_PKS1_21rocsparse_index_base_PS1_Pi, .Lfunc_end9-_ZN9rocsparseL29kernel_count_missing_diagonalILj1024EliEEvT1_PKT0_S1_PKS1_21rocsparse_index_base_PS1_Pi
                                        ; -- End function
	.set _ZN9rocsparseL29kernel_count_missing_diagonalILj1024EliEEvT1_PKT0_S1_PKS1_21rocsparse_index_base_PS1_Pi.num_vgpr, 4
	.set _ZN9rocsparseL29kernel_count_missing_diagonalILj1024EliEEvT1_PKT0_S1_PKS1_21rocsparse_index_base_PS1_Pi.num_agpr, 0
	.set _ZN9rocsparseL29kernel_count_missing_diagonalILj1024EliEEvT1_PKT0_S1_PKS1_21rocsparse_index_base_PS1_Pi.numbered_sgpr, 11
	.set _ZN9rocsparseL29kernel_count_missing_diagonalILj1024EliEEvT1_PKT0_S1_PKS1_21rocsparse_index_base_PS1_Pi.num_named_barrier, 0
	.set _ZN9rocsparseL29kernel_count_missing_diagonalILj1024EliEEvT1_PKT0_S1_PKS1_21rocsparse_index_base_PS1_Pi.private_seg_size, 0
	.set _ZN9rocsparseL29kernel_count_missing_diagonalILj1024EliEEvT1_PKT0_S1_PKS1_21rocsparse_index_base_PS1_Pi.uses_vcc, 1
	.set _ZN9rocsparseL29kernel_count_missing_diagonalILj1024EliEEvT1_PKT0_S1_PKS1_21rocsparse_index_base_PS1_Pi.uses_flat_scratch, 0
	.set _ZN9rocsparseL29kernel_count_missing_diagonalILj1024EliEEvT1_PKT0_S1_PKS1_21rocsparse_index_base_PS1_Pi.has_dyn_sized_stack, 0
	.set _ZN9rocsparseL29kernel_count_missing_diagonalILj1024EliEEvT1_PKT0_S1_PKS1_21rocsparse_index_base_PS1_Pi.has_recursion, 0
	.set _ZN9rocsparseL29kernel_count_missing_diagonalILj1024EliEEvT1_PKT0_S1_PKS1_21rocsparse_index_base_PS1_Pi.has_indirect_call, 0
	.section	.AMDGPU.csdata,"",@progbits
; Kernel info:
; codeLenInByte = 388
; TotalNumSgprs: 13
; NumVgprs: 4
; ScratchSize: 0
; MemoryBound: 0
; FloatMode: 240
; IeeeMode: 1
; LDSByteSize: 0 bytes/workgroup (compile time only)
; SGPRBlocks: 0
; VGPRBlocks: 0
; NumSGPRsForWavesPerEU: 13
; NumVGPRsForWavesPerEU: 4
; NamedBarCnt: 0
; Occupancy: 16
; WaveLimiterHint : 1
; COMPUTE_PGM_RSRC2:SCRATCH_EN: 0
; COMPUTE_PGM_RSRC2:USER_SGPR: 2
; COMPUTE_PGM_RSRC2:TRAP_HANDLER: 0
; COMPUTE_PGM_RSRC2:TGID_X_EN: 1
; COMPUTE_PGM_RSRC2:TGID_Y_EN: 0
; COMPUTE_PGM_RSRC2:TGID_Z_EN: 0
; COMPUTE_PGM_RSRC2:TIDIG_COMP_CNT: 0
	.section	.text._ZN9rocsparseL30kernel_count_missing_diagonal2IL20rocsparse_fill_mode_0ELj1024EliEEvT2_PKT1_PKS2_21rocsparse_index_base_PS2_Pi,"axG",@progbits,_ZN9rocsparseL30kernel_count_missing_diagonal2IL20rocsparse_fill_mode_0ELj1024EliEEvT2_PKT1_PKS2_21rocsparse_index_base_PS2_Pi,comdat
	.globl	_ZN9rocsparseL30kernel_count_missing_diagonal2IL20rocsparse_fill_mode_0ELj1024EliEEvT2_PKT1_PKS2_21rocsparse_index_base_PS2_Pi ; -- Begin function _ZN9rocsparseL30kernel_count_missing_diagonal2IL20rocsparse_fill_mode_0ELj1024EliEEvT2_PKT1_PKS2_21rocsparse_index_base_PS2_Pi
	.p2align	8
	.type	_ZN9rocsparseL30kernel_count_missing_diagonal2IL20rocsparse_fill_mode_0ELj1024EliEEvT2_PKT1_PKS2_21rocsparse_index_base_PS2_Pi,@function
_ZN9rocsparseL30kernel_count_missing_diagonal2IL20rocsparse_fill_mode_0ELj1024EliEEvT2_PKT1_PKS2_21rocsparse_index_base_PS2_Pi: ; @_ZN9rocsparseL30kernel_count_missing_diagonal2IL20rocsparse_fill_mode_0ELj1024EliEEvT2_PKT1_PKS2_21rocsparse_index_base_PS2_Pi
; %bb.0:
	s_load_b32 s2, s[0:1], 0x0
	s_bfe_u32 s3, ttmp6, 0x4000c
	s_and_b32 s4, ttmp6, 15
	s_add_co_i32 s3, s3, 1
	s_getreg_b32 s5, hwreg(HW_REG_IB_STS2, 6, 4)
	s_mul_i32 s3, ttmp9, s3
	s_delay_alu instid0(SALU_CYCLE_1) | instskip(SKIP_3) | instid1(SALU_CYCLE_1)
	s_add_co_i32 s4, s4, s3
	s_cmp_eq_u32 s5, 0
	s_mov_b32 s5, 0
	s_cselect_b32 s3, ttmp9, s4
	v_lshl_or_b32 v0, s3, 10, v0
	s_wait_kmcnt 0x0
	s_delay_alu instid0(VALU_DEP_1)
	v_cmp_gt_i32_e32 vcc_lo, s2, v0
	s_and_saveexec_b32 s2, vcc_lo
	s_cbranch_execz .LBB10_8
; %bb.1:
	s_clause 0x1
	s_load_b128 s[8:11], s[0:1], 0x8
	s_load_b32 s4, s[0:1], 0x18
	s_wait_kmcnt 0x0
	global_load_b64 v[2:3], v0, s[8:9] offset:8 scale_offset
	s_not_b64 s[2:3], s[4:5]
	s_wait_loadcnt 0x0
	v_lshl_add_u64 v[2:3], v[2:3], 2, s[10:11]
	s_delay_alu instid0(VALU_DEP_1) | instskip(SKIP_3) | instid1(VALU_DEP_1)
	v_lshl_add_u64 v[2:3], s[2:3], 2, v[2:3]
	global_load_b32 v1, v[2:3], off
	s_wait_loadcnt 0x0
	v_subrev_nc_u32_e32 v1, s4, v1
	v_cmp_ne_u32_e32 vcc_lo, v1, v0
	s_and_b32 exec_lo, exec_lo, vcc_lo
	s_cbranch_execz .LBB10_8
; %bb.2:
	s_load_b128 s[0:3], s[0:1], 0x20
	v_add_nc_u32_e32 v0, s4, v0
	s_mov_b32 s5, exec_lo
	s_brev_b32 s4, -2
.LBB10_3:                               ; =>This Inner Loop Header: Depth=1
	s_ctz_i32_b32 s6, s5
	s_delay_alu instid0(VALU_DEP_1) | instid1(SALU_CYCLE_1)
	v_readlane_b32 s7, v0, s6
	s_lshl_b32 s6, 1, s6
	s_delay_alu instid0(SALU_CYCLE_1)
	s_and_not1_b32 s5, s5, s6
	s_min_i32 s4, s4, s7
	s_cmp_lg_u32 s5, 0
	s_cbranch_scc1 .LBB10_3
; %bb.4:
	v_mbcnt_lo_u32_b32 v0, exec_lo, 0
	s_mov_b32 s5, exec_lo
	s_delay_alu instid0(VALU_DEP_1)
	v_cmpx_eq_u32_e32 0, v0
	s_xor_b32 s5, exec_lo, s5
	s_cbranch_execz .LBB10_6
; %bb.5:
	v_dual_mov_b32 v0, 0 :: v_dual_mov_b32 v1, s4
	s_wait_xcnt 0x0
	s_wait_kmcnt 0x0
	global_atomic_min_i32 v0, v1, s[2:3] scope:SCOPE_DEV
.LBB10_6:
	s_wait_xcnt 0x0
	s_or_b32 exec_lo, exec_lo, s5
	s_wait_kmcnt 0x0
	s_mov_b32 s2, exec_lo
	s_delay_alu instid0(SALU_CYCLE_1) | instskip(NEXT) | instid1(VALU_DEP_1)
	v_mbcnt_lo_u32_b32 v0, s2, 0
	v_cmp_eq_u32_e32 vcc_lo, 0, v0
	s_and_b32 s3, exec_lo, vcc_lo
	s_delay_alu instid0(SALU_CYCLE_1)
	s_mov_b32 exec_lo, s3
	s_cbranch_execz .LBB10_8
; %bb.7:
	s_bcnt1_i32_b32 s2, s2
	s_delay_alu instid0(SALU_CYCLE_1)
	v_dual_mov_b32 v0, 0 :: v_dual_mov_b32 v1, s2
	global_atomic_add_u32 v0, v1, s[0:1] scope:SCOPE_DEV
.LBB10_8:
	s_endpgm
	.section	.rodata,"a",@progbits
	.p2align	6, 0x0
	.amdhsa_kernel _ZN9rocsparseL30kernel_count_missing_diagonal2IL20rocsparse_fill_mode_0ELj1024EliEEvT2_PKT1_PKS2_21rocsparse_index_base_PS2_Pi
		.amdhsa_group_segment_fixed_size 0
		.amdhsa_private_segment_fixed_size 0
		.amdhsa_kernarg_size 48
		.amdhsa_user_sgpr_count 2
		.amdhsa_user_sgpr_dispatch_ptr 0
		.amdhsa_user_sgpr_queue_ptr 0
		.amdhsa_user_sgpr_kernarg_segment_ptr 1
		.amdhsa_user_sgpr_dispatch_id 0
		.amdhsa_user_sgpr_kernarg_preload_length 0
		.amdhsa_user_sgpr_kernarg_preload_offset 0
		.amdhsa_user_sgpr_private_segment_size 0
		.amdhsa_wavefront_size32 1
		.amdhsa_uses_dynamic_stack 0
		.amdhsa_enable_private_segment 0
		.amdhsa_system_sgpr_workgroup_id_x 1
		.amdhsa_system_sgpr_workgroup_id_y 0
		.amdhsa_system_sgpr_workgroup_id_z 0
		.amdhsa_system_sgpr_workgroup_info 0
		.amdhsa_system_vgpr_workitem_id 0
		.amdhsa_next_free_vgpr 4
		.amdhsa_next_free_sgpr 12
		.amdhsa_named_barrier_count 0
		.amdhsa_reserve_vcc 1
		.amdhsa_float_round_mode_32 0
		.amdhsa_float_round_mode_16_64 0
		.amdhsa_float_denorm_mode_32 3
		.amdhsa_float_denorm_mode_16_64 3
		.amdhsa_fp16_overflow 0
		.amdhsa_memory_ordered 1
		.amdhsa_forward_progress 1
		.amdhsa_inst_pref_size 3
		.amdhsa_round_robin_scheduling 0
		.amdhsa_exception_fp_ieee_invalid_op 0
		.amdhsa_exception_fp_denorm_src 0
		.amdhsa_exception_fp_ieee_div_zero 0
		.amdhsa_exception_fp_ieee_overflow 0
		.amdhsa_exception_fp_ieee_underflow 0
		.amdhsa_exception_fp_ieee_inexact 0
		.amdhsa_exception_int_div_zero 0
	.end_amdhsa_kernel
	.section	.text._ZN9rocsparseL30kernel_count_missing_diagonal2IL20rocsparse_fill_mode_0ELj1024EliEEvT2_PKT1_PKS2_21rocsparse_index_base_PS2_Pi,"axG",@progbits,_ZN9rocsparseL30kernel_count_missing_diagonal2IL20rocsparse_fill_mode_0ELj1024EliEEvT2_PKT1_PKS2_21rocsparse_index_base_PS2_Pi,comdat
.Lfunc_end10:
	.size	_ZN9rocsparseL30kernel_count_missing_diagonal2IL20rocsparse_fill_mode_0ELj1024EliEEvT2_PKT1_PKS2_21rocsparse_index_base_PS2_Pi, .Lfunc_end10-_ZN9rocsparseL30kernel_count_missing_diagonal2IL20rocsparse_fill_mode_0ELj1024EliEEvT2_PKT1_PKS2_21rocsparse_index_base_PS2_Pi
                                        ; -- End function
	.set _ZN9rocsparseL30kernel_count_missing_diagonal2IL20rocsparse_fill_mode_0ELj1024EliEEvT2_PKT1_PKS2_21rocsparse_index_base_PS2_Pi.num_vgpr, 4
	.set _ZN9rocsparseL30kernel_count_missing_diagonal2IL20rocsparse_fill_mode_0ELj1024EliEEvT2_PKT1_PKS2_21rocsparse_index_base_PS2_Pi.num_agpr, 0
	.set _ZN9rocsparseL30kernel_count_missing_diagonal2IL20rocsparse_fill_mode_0ELj1024EliEEvT2_PKT1_PKS2_21rocsparse_index_base_PS2_Pi.numbered_sgpr, 12
	.set _ZN9rocsparseL30kernel_count_missing_diagonal2IL20rocsparse_fill_mode_0ELj1024EliEEvT2_PKT1_PKS2_21rocsparse_index_base_PS2_Pi.num_named_barrier, 0
	.set _ZN9rocsparseL30kernel_count_missing_diagonal2IL20rocsparse_fill_mode_0ELj1024EliEEvT2_PKT1_PKS2_21rocsparse_index_base_PS2_Pi.private_seg_size, 0
	.set _ZN9rocsparseL30kernel_count_missing_diagonal2IL20rocsparse_fill_mode_0ELj1024EliEEvT2_PKT1_PKS2_21rocsparse_index_base_PS2_Pi.uses_vcc, 1
	.set _ZN9rocsparseL30kernel_count_missing_diagonal2IL20rocsparse_fill_mode_0ELj1024EliEEvT2_PKT1_PKS2_21rocsparse_index_base_PS2_Pi.uses_flat_scratch, 0
	.set _ZN9rocsparseL30kernel_count_missing_diagonal2IL20rocsparse_fill_mode_0ELj1024EliEEvT2_PKT1_PKS2_21rocsparse_index_base_PS2_Pi.has_dyn_sized_stack, 0
	.set _ZN9rocsparseL30kernel_count_missing_diagonal2IL20rocsparse_fill_mode_0ELj1024EliEEvT2_PKT1_PKS2_21rocsparse_index_base_PS2_Pi.has_recursion, 0
	.set _ZN9rocsparseL30kernel_count_missing_diagonal2IL20rocsparse_fill_mode_0ELj1024EliEEvT2_PKT1_PKS2_21rocsparse_index_base_PS2_Pi.has_indirect_call, 0
	.section	.AMDGPU.csdata,"",@progbits
; Kernel info:
; codeLenInByte = 372
; TotalNumSgprs: 14
; NumVgprs: 4
; ScratchSize: 0
; MemoryBound: 0
; FloatMode: 240
; IeeeMode: 1
; LDSByteSize: 0 bytes/workgroup (compile time only)
; SGPRBlocks: 0
; VGPRBlocks: 0
; NumSGPRsForWavesPerEU: 14
; NumVGPRsForWavesPerEU: 4
; NamedBarCnt: 0
; Occupancy: 16
; WaveLimiterHint : 1
; COMPUTE_PGM_RSRC2:SCRATCH_EN: 0
; COMPUTE_PGM_RSRC2:USER_SGPR: 2
; COMPUTE_PGM_RSRC2:TRAP_HANDLER: 0
; COMPUTE_PGM_RSRC2:TGID_X_EN: 1
; COMPUTE_PGM_RSRC2:TGID_Y_EN: 0
; COMPUTE_PGM_RSRC2:TGID_Z_EN: 0
; COMPUTE_PGM_RSRC2:TIDIG_COMP_CNT: 0
	.section	.text._ZN9rocsparseL30kernel_count_missing_diagonal2IL20rocsparse_fill_mode_1ELj1024EliEEvT2_PKT1_PKS2_21rocsparse_index_base_PS2_Pi,"axG",@progbits,_ZN9rocsparseL30kernel_count_missing_diagonal2IL20rocsparse_fill_mode_1ELj1024EliEEvT2_PKT1_PKS2_21rocsparse_index_base_PS2_Pi,comdat
	.globl	_ZN9rocsparseL30kernel_count_missing_diagonal2IL20rocsparse_fill_mode_1ELj1024EliEEvT2_PKT1_PKS2_21rocsparse_index_base_PS2_Pi ; -- Begin function _ZN9rocsparseL30kernel_count_missing_diagonal2IL20rocsparse_fill_mode_1ELj1024EliEEvT2_PKT1_PKS2_21rocsparse_index_base_PS2_Pi
	.p2align	8
	.type	_ZN9rocsparseL30kernel_count_missing_diagonal2IL20rocsparse_fill_mode_1ELj1024EliEEvT2_PKT1_PKS2_21rocsparse_index_base_PS2_Pi,@function
_ZN9rocsparseL30kernel_count_missing_diagonal2IL20rocsparse_fill_mode_1ELj1024EliEEvT2_PKT1_PKS2_21rocsparse_index_base_PS2_Pi: ; @_ZN9rocsparseL30kernel_count_missing_diagonal2IL20rocsparse_fill_mode_1ELj1024EliEEvT2_PKT1_PKS2_21rocsparse_index_base_PS2_Pi
; %bb.0:
	s_load_b32 s2, s[0:1], 0x0
	s_bfe_u32 s3, ttmp6, 0x4000c
	s_and_b32 s4, ttmp6, 15
	s_add_co_i32 s3, s3, 1
	s_getreg_b32 s5, hwreg(HW_REG_IB_STS2, 6, 4)
	s_mul_i32 s3, ttmp9, s3
	s_delay_alu instid0(SALU_CYCLE_1) | instskip(SKIP_3) | instid1(SALU_CYCLE_1)
	s_add_co_i32 s4, s4, s3
	s_cmp_eq_u32 s5, 0
	s_mov_b32 s5, 0
	s_cselect_b32 s3, ttmp9, s4
	v_lshl_or_b32 v0, s3, 10, v0
	s_wait_kmcnt 0x0
	s_delay_alu instid0(VALU_DEP_1)
	v_cmp_gt_i32_e32 vcc_lo, s2, v0
	s_and_saveexec_b32 s2, vcc_lo
	s_cbranch_execz .LBB11_8
; %bb.1:
	s_clause 0x1
	s_load_b128 s[8:11], s[0:1], 0x8
	s_load_b32 s4, s[0:1], 0x18
	s_wait_kmcnt 0x0
	global_load_b64 v[2:3], v0, s[8:9] scale_offset
	s_wait_loadcnt 0x0
	v_sub_nc_u64_e64 v[2:3], v[2:3], s[4:5]
	s_delay_alu instid0(VALU_DEP_1) | instskip(SKIP_3) | instid1(VALU_DEP_1)
	v_lshl_add_u64 v[2:3], v[2:3], 2, s[10:11]
	global_load_b32 v1, v[2:3], off
	s_wait_loadcnt 0x0
	v_subrev_nc_u32_e32 v1, s4, v1
	v_cmp_ne_u32_e32 vcc_lo, v1, v0
	s_and_b32 exec_lo, exec_lo, vcc_lo
	s_cbranch_execz .LBB11_8
; %bb.2:
	s_load_b128 s[0:3], s[0:1], 0x20
	v_add_nc_u32_e32 v0, s4, v0
	s_mov_b32 s5, exec_lo
	s_brev_b32 s4, -2
.LBB11_3:                               ; =>This Inner Loop Header: Depth=1
	s_ctz_i32_b32 s6, s5
	s_delay_alu instid0(VALU_DEP_1) | instid1(SALU_CYCLE_1)
	v_readlane_b32 s7, v0, s6
	s_lshl_b32 s6, 1, s6
	s_delay_alu instid0(SALU_CYCLE_1)
	s_and_not1_b32 s5, s5, s6
	s_min_i32 s4, s4, s7
	s_cmp_lg_u32 s5, 0
	s_cbranch_scc1 .LBB11_3
; %bb.4:
	v_mbcnt_lo_u32_b32 v0, exec_lo, 0
	s_mov_b32 s5, exec_lo
	s_delay_alu instid0(VALU_DEP_1)
	v_cmpx_eq_u32_e32 0, v0
	s_xor_b32 s5, exec_lo, s5
	s_cbranch_execz .LBB11_6
; %bb.5:
	v_dual_mov_b32 v0, 0 :: v_dual_mov_b32 v1, s4
	s_wait_xcnt 0x0
	s_wait_kmcnt 0x0
	global_atomic_min_i32 v0, v1, s[2:3] scope:SCOPE_DEV
.LBB11_6:
	s_wait_xcnt 0x0
	s_or_b32 exec_lo, exec_lo, s5
	s_wait_kmcnt 0x0
	s_mov_b32 s2, exec_lo
	s_delay_alu instid0(SALU_CYCLE_1) | instskip(NEXT) | instid1(VALU_DEP_1)
	v_mbcnt_lo_u32_b32 v0, s2, 0
	v_cmp_eq_u32_e32 vcc_lo, 0, v0
	s_and_b32 s3, exec_lo, vcc_lo
	s_delay_alu instid0(SALU_CYCLE_1)
	s_mov_b32 exec_lo, s3
	s_cbranch_execz .LBB11_8
; %bb.7:
	s_bcnt1_i32_b32 s2, s2
	s_delay_alu instid0(SALU_CYCLE_1)
	v_dual_mov_b32 v0, 0 :: v_dual_mov_b32 v1, s2
	global_atomic_add_u32 v0, v1, s[0:1] scope:SCOPE_DEV
.LBB11_8:
	s_endpgm
	.section	.rodata,"a",@progbits
	.p2align	6, 0x0
	.amdhsa_kernel _ZN9rocsparseL30kernel_count_missing_diagonal2IL20rocsparse_fill_mode_1ELj1024EliEEvT2_PKT1_PKS2_21rocsparse_index_base_PS2_Pi
		.amdhsa_group_segment_fixed_size 0
		.amdhsa_private_segment_fixed_size 0
		.amdhsa_kernarg_size 48
		.amdhsa_user_sgpr_count 2
		.amdhsa_user_sgpr_dispatch_ptr 0
		.amdhsa_user_sgpr_queue_ptr 0
		.amdhsa_user_sgpr_kernarg_segment_ptr 1
		.amdhsa_user_sgpr_dispatch_id 0
		.amdhsa_user_sgpr_kernarg_preload_length 0
		.amdhsa_user_sgpr_kernarg_preload_offset 0
		.amdhsa_user_sgpr_private_segment_size 0
		.amdhsa_wavefront_size32 1
		.amdhsa_uses_dynamic_stack 0
		.amdhsa_enable_private_segment 0
		.amdhsa_system_sgpr_workgroup_id_x 1
		.amdhsa_system_sgpr_workgroup_id_y 0
		.amdhsa_system_sgpr_workgroup_id_z 0
		.amdhsa_system_sgpr_workgroup_info 0
		.amdhsa_system_vgpr_workitem_id 0
		.amdhsa_next_free_vgpr 4
		.amdhsa_next_free_sgpr 12
		.amdhsa_named_barrier_count 0
		.amdhsa_reserve_vcc 1
		.amdhsa_float_round_mode_32 0
		.amdhsa_float_round_mode_16_64 0
		.amdhsa_float_denorm_mode_32 3
		.amdhsa_float_denorm_mode_16_64 3
		.amdhsa_fp16_overflow 0
		.amdhsa_memory_ordered 1
		.amdhsa_forward_progress 1
		.amdhsa_inst_pref_size 3
		.amdhsa_round_robin_scheduling 0
		.amdhsa_exception_fp_ieee_invalid_op 0
		.amdhsa_exception_fp_denorm_src 0
		.amdhsa_exception_fp_ieee_div_zero 0
		.amdhsa_exception_fp_ieee_overflow 0
		.amdhsa_exception_fp_ieee_underflow 0
		.amdhsa_exception_fp_ieee_inexact 0
		.amdhsa_exception_int_div_zero 0
	.end_amdhsa_kernel
	.section	.text._ZN9rocsparseL30kernel_count_missing_diagonal2IL20rocsparse_fill_mode_1ELj1024EliEEvT2_PKT1_PKS2_21rocsparse_index_base_PS2_Pi,"axG",@progbits,_ZN9rocsparseL30kernel_count_missing_diagonal2IL20rocsparse_fill_mode_1ELj1024EliEEvT2_PKT1_PKS2_21rocsparse_index_base_PS2_Pi,comdat
.Lfunc_end11:
	.size	_ZN9rocsparseL30kernel_count_missing_diagonal2IL20rocsparse_fill_mode_1ELj1024EliEEvT2_PKT1_PKS2_21rocsparse_index_base_PS2_Pi, .Lfunc_end11-_ZN9rocsparseL30kernel_count_missing_diagonal2IL20rocsparse_fill_mode_1ELj1024EliEEvT2_PKT1_PKS2_21rocsparse_index_base_PS2_Pi
                                        ; -- End function
	.set _ZN9rocsparseL30kernel_count_missing_diagonal2IL20rocsparse_fill_mode_1ELj1024EliEEvT2_PKT1_PKS2_21rocsparse_index_base_PS2_Pi.num_vgpr, 4
	.set _ZN9rocsparseL30kernel_count_missing_diagonal2IL20rocsparse_fill_mode_1ELj1024EliEEvT2_PKT1_PKS2_21rocsparse_index_base_PS2_Pi.num_agpr, 0
	.set _ZN9rocsparseL30kernel_count_missing_diagonal2IL20rocsparse_fill_mode_1ELj1024EliEEvT2_PKT1_PKS2_21rocsparse_index_base_PS2_Pi.numbered_sgpr, 12
	.set _ZN9rocsparseL30kernel_count_missing_diagonal2IL20rocsparse_fill_mode_1ELj1024EliEEvT2_PKT1_PKS2_21rocsparse_index_base_PS2_Pi.num_named_barrier, 0
	.set _ZN9rocsparseL30kernel_count_missing_diagonal2IL20rocsparse_fill_mode_1ELj1024EliEEvT2_PKT1_PKS2_21rocsparse_index_base_PS2_Pi.private_seg_size, 0
	.set _ZN9rocsparseL30kernel_count_missing_diagonal2IL20rocsparse_fill_mode_1ELj1024EliEEvT2_PKT1_PKS2_21rocsparse_index_base_PS2_Pi.uses_vcc, 1
	.set _ZN9rocsparseL30kernel_count_missing_diagonal2IL20rocsparse_fill_mode_1ELj1024EliEEvT2_PKT1_PKS2_21rocsparse_index_base_PS2_Pi.uses_flat_scratch, 0
	.set _ZN9rocsparseL30kernel_count_missing_diagonal2IL20rocsparse_fill_mode_1ELj1024EliEEvT2_PKT1_PKS2_21rocsparse_index_base_PS2_Pi.has_dyn_sized_stack, 0
	.set _ZN9rocsparseL30kernel_count_missing_diagonal2IL20rocsparse_fill_mode_1ELj1024EliEEvT2_PKT1_PKS2_21rocsparse_index_base_PS2_Pi.has_recursion, 0
	.set _ZN9rocsparseL30kernel_count_missing_diagonal2IL20rocsparse_fill_mode_1ELj1024EliEEvT2_PKT1_PKS2_21rocsparse_index_base_PS2_Pi.has_indirect_call, 0
	.section	.AMDGPU.csdata,"",@progbits
; Kernel info:
; codeLenInByte = 368
; TotalNumSgprs: 14
; NumVgprs: 4
; ScratchSize: 0
; MemoryBound: 0
; FloatMode: 240
; IeeeMode: 1
; LDSByteSize: 0 bytes/workgroup (compile time only)
; SGPRBlocks: 0
; VGPRBlocks: 0
; NumSGPRsForWavesPerEU: 14
; NumVGPRsForWavesPerEU: 4
; NamedBarCnt: 0
; Occupancy: 16
; WaveLimiterHint : 1
; COMPUTE_PGM_RSRC2:SCRATCH_EN: 0
; COMPUTE_PGM_RSRC2:USER_SGPR: 2
; COMPUTE_PGM_RSRC2:TRAP_HANDLER: 0
; COMPUTE_PGM_RSRC2:TGID_X_EN: 1
; COMPUTE_PGM_RSRC2:TGID_Y_EN: 0
; COMPUTE_PGM_RSRC2:TGID_Z_EN: 0
; COMPUTE_PGM_RSRC2:TIDIG_COMP_CNT: 0
	.section	.text._ZN9rocsparseL32kernel_count_diagonal_triangularIL20rocsparse_fill_mode_0ELj1024EliEEvT2_PKT1_PKS2_21rocsparse_index_base_PS2_,"axG",@progbits,_ZN9rocsparseL32kernel_count_diagonal_triangularIL20rocsparse_fill_mode_0ELj1024EliEEvT2_PKT1_PKS2_21rocsparse_index_base_PS2_,comdat
	.globl	_ZN9rocsparseL32kernel_count_diagonal_triangularIL20rocsparse_fill_mode_0ELj1024EliEEvT2_PKT1_PKS2_21rocsparse_index_base_PS2_ ; -- Begin function _ZN9rocsparseL32kernel_count_diagonal_triangularIL20rocsparse_fill_mode_0ELj1024EliEEvT2_PKT1_PKS2_21rocsparse_index_base_PS2_
	.p2align	8
	.type	_ZN9rocsparseL32kernel_count_diagonal_triangularIL20rocsparse_fill_mode_0ELj1024EliEEvT2_PKT1_PKS2_21rocsparse_index_base_PS2_,@function
_ZN9rocsparseL32kernel_count_diagonal_triangularIL20rocsparse_fill_mode_0ELj1024EliEEvT2_PKT1_PKS2_21rocsparse_index_base_PS2_: ; @_ZN9rocsparseL32kernel_count_diagonal_triangularIL20rocsparse_fill_mode_0ELj1024EliEEvT2_PKT1_PKS2_21rocsparse_index_base_PS2_
; %bb.0:
	s_load_b32 s2, s[0:1], 0x0
	s_bfe_u32 s3, ttmp6, 0x4000c
	s_and_b32 s4, ttmp6, 15
	s_add_co_i32 s3, s3, 1
	s_getreg_b32 s5, hwreg(HW_REG_IB_STS2, 6, 4)
	s_mul_i32 s3, ttmp9, s3
	s_delay_alu instid0(SALU_CYCLE_1) | instskip(SKIP_2) | instid1(SALU_CYCLE_1)
	s_add_co_i32 s4, s4, s3
	s_cmp_eq_u32 s5, 0
	s_cselect_b32 s3, ttmp9, s4
	v_lshl_or_b32 v0, s3, 10, v0
	s_mov_b32 s3, 0
	s_wait_kmcnt 0x0
	s_delay_alu instid0(VALU_DEP_1)
	v_cmp_gt_i32_e32 vcc_lo, s2, v0
	s_and_saveexec_b32 s2, vcc_lo
	s_cbranch_execz .LBB12_4
; %bb.1:
	s_clause 0x1
	s_load_b128 s[4:7], s[0:1], 0x8
	s_load_b32 s2, s[0:1], 0x18
	s_wait_kmcnt 0x0
	global_load_b64 v[2:3], v0, s[4:5] offset:8 scale_offset
	s_wait_xcnt 0x0
	s_not_b64 s[4:5], s[2:3]
	s_wait_loadcnt 0x0
	v_lshl_add_u64 v[2:3], v[2:3], 2, s[6:7]
	s_delay_alu instid0(VALU_DEP_1) | instskip(SKIP_3) | instid1(VALU_DEP_1)
	v_lshl_add_u64 v[2:3], s[4:5], 2, v[2:3]
	global_load_b32 v1, v[2:3], off
	s_wait_loadcnt 0x0
	v_subrev_nc_u32_e32 v1, s2, v1
	v_cmp_eq_u32_e32 vcc_lo, v1, v0
	s_and_b32 exec_lo, exec_lo, vcc_lo
	s_cbranch_execz .LBB12_4
; %bb.2:
	s_mov_b32 s2, exec_lo
	s_delay_alu instid0(SALU_CYCLE_1) | instskip(NEXT) | instid1(VALU_DEP_1)
	v_mbcnt_lo_u32_b32 v0, s2, 0
	v_cmp_eq_u32_e32 vcc_lo, 0, v0
	s_and_b32 s3, exec_lo, vcc_lo
	s_delay_alu instid0(SALU_CYCLE_1)
	s_mov_b32 exec_lo, s3
	s_cbranch_execz .LBB12_4
; %bb.3:
	s_load_b64 s[0:1], s[0:1], 0x20
	s_bcnt1_i32_b32 s2, s2
	s_delay_alu instid0(SALU_CYCLE_1)
	v_dual_mov_b32 v0, 0 :: v_dual_mov_b32 v1, s2
	s_wait_xcnt 0x0
	s_wait_kmcnt 0x0
	global_atomic_add_u32 v0, v1, s[0:1] scope:SCOPE_DEV
.LBB12_4:
	s_endpgm
	.section	.rodata,"a",@progbits
	.p2align	6, 0x0
	.amdhsa_kernel _ZN9rocsparseL32kernel_count_diagonal_triangularIL20rocsparse_fill_mode_0ELj1024EliEEvT2_PKT1_PKS2_21rocsparse_index_base_PS2_
		.amdhsa_group_segment_fixed_size 0
		.amdhsa_private_segment_fixed_size 0
		.amdhsa_kernarg_size 40
		.amdhsa_user_sgpr_count 2
		.amdhsa_user_sgpr_dispatch_ptr 0
		.amdhsa_user_sgpr_queue_ptr 0
		.amdhsa_user_sgpr_kernarg_segment_ptr 1
		.amdhsa_user_sgpr_dispatch_id 0
		.amdhsa_user_sgpr_kernarg_preload_length 0
		.amdhsa_user_sgpr_kernarg_preload_offset 0
		.amdhsa_user_sgpr_private_segment_size 0
		.amdhsa_wavefront_size32 1
		.amdhsa_uses_dynamic_stack 0
		.amdhsa_enable_private_segment 0
		.amdhsa_system_sgpr_workgroup_id_x 1
		.amdhsa_system_sgpr_workgroup_id_y 0
		.amdhsa_system_sgpr_workgroup_id_z 0
		.amdhsa_system_sgpr_workgroup_info 0
		.amdhsa_system_vgpr_workitem_id 0
		.amdhsa_next_free_vgpr 4
		.amdhsa_next_free_sgpr 8
		.amdhsa_named_barrier_count 0
		.amdhsa_reserve_vcc 1
		.amdhsa_float_round_mode_32 0
		.amdhsa_float_round_mode_16_64 0
		.amdhsa_float_denorm_mode_32 3
		.amdhsa_float_denorm_mode_16_64 3
		.amdhsa_fp16_overflow 0
		.amdhsa_memory_ordered 1
		.amdhsa_forward_progress 1
		.amdhsa_inst_pref_size 3
		.amdhsa_round_robin_scheduling 0
		.amdhsa_exception_fp_ieee_invalid_op 0
		.amdhsa_exception_fp_denorm_src 0
		.amdhsa_exception_fp_ieee_div_zero 0
		.amdhsa_exception_fp_ieee_overflow 0
		.amdhsa_exception_fp_ieee_underflow 0
		.amdhsa_exception_fp_ieee_inexact 0
		.amdhsa_exception_int_div_zero 0
	.end_amdhsa_kernel
	.section	.text._ZN9rocsparseL32kernel_count_diagonal_triangularIL20rocsparse_fill_mode_0ELj1024EliEEvT2_PKT1_PKS2_21rocsparse_index_base_PS2_,"axG",@progbits,_ZN9rocsparseL32kernel_count_diagonal_triangularIL20rocsparse_fill_mode_0ELj1024EliEEvT2_PKT1_PKS2_21rocsparse_index_base_PS2_,comdat
.Lfunc_end12:
	.size	_ZN9rocsparseL32kernel_count_diagonal_triangularIL20rocsparse_fill_mode_0ELj1024EliEEvT2_PKT1_PKS2_21rocsparse_index_base_PS2_, .Lfunc_end12-_ZN9rocsparseL32kernel_count_diagonal_triangularIL20rocsparse_fill_mode_0ELj1024EliEEvT2_PKT1_PKS2_21rocsparse_index_base_PS2_
                                        ; -- End function
	.set _ZN9rocsparseL32kernel_count_diagonal_triangularIL20rocsparse_fill_mode_0ELj1024EliEEvT2_PKT1_PKS2_21rocsparse_index_base_PS2_.num_vgpr, 4
	.set _ZN9rocsparseL32kernel_count_diagonal_triangularIL20rocsparse_fill_mode_0ELj1024EliEEvT2_PKT1_PKS2_21rocsparse_index_base_PS2_.num_agpr, 0
	.set _ZN9rocsparseL32kernel_count_diagonal_triangularIL20rocsparse_fill_mode_0ELj1024EliEEvT2_PKT1_PKS2_21rocsparse_index_base_PS2_.numbered_sgpr, 8
	.set _ZN9rocsparseL32kernel_count_diagonal_triangularIL20rocsparse_fill_mode_0ELj1024EliEEvT2_PKT1_PKS2_21rocsparse_index_base_PS2_.num_named_barrier, 0
	.set _ZN9rocsparseL32kernel_count_diagonal_triangularIL20rocsparse_fill_mode_0ELj1024EliEEvT2_PKT1_PKS2_21rocsparse_index_base_PS2_.private_seg_size, 0
	.set _ZN9rocsparseL32kernel_count_diagonal_triangularIL20rocsparse_fill_mode_0ELj1024EliEEvT2_PKT1_PKS2_21rocsparse_index_base_PS2_.uses_vcc, 1
	.set _ZN9rocsparseL32kernel_count_diagonal_triangularIL20rocsparse_fill_mode_0ELj1024EliEEvT2_PKT1_PKS2_21rocsparse_index_base_PS2_.uses_flat_scratch, 0
	.set _ZN9rocsparseL32kernel_count_diagonal_triangularIL20rocsparse_fill_mode_0ELj1024EliEEvT2_PKT1_PKS2_21rocsparse_index_base_PS2_.has_dyn_sized_stack, 0
	.set _ZN9rocsparseL32kernel_count_diagonal_triangularIL20rocsparse_fill_mode_0ELj1024EliEEvT2_PKT1_PKS2_21rocsparse_index_base_PS2_.has_recursion, 0
	.set _ZN9rocsparseL32kernel_count_diagonal_triangularIL20rocsparse_fill_mode_0ELj1024EliEEvT2_PKT1_PKS2_21rocsparse_index_base_PS2_.has_indirect_call, 0
	.section	.AMDGPU.csdata,"",@progbits
; Kernel info:
; codeLenInByte = 264
; TotalNumSgprs: 10
; NumVgprs: 4
; ScratchSize: 0
; MemoryBound: 0
; FloatMode: 240
; IeeeMode: 1
; LDSByteSize: 0 bytes/workgroup (compile time only)
; SGPRBlocks: 0
; VGPRBlocks: 0
; NumSGPRsForWavesPerEU: 10
; NumVGPRsForWavesPerEU: 4
; NamedBarCnt: 0
; Occupancy: 16
; WaveLimiterHint : 1
; COMPUTE_PGM_RSRC2:SCRATCH_EN: 0
; COMPUTE_PGM_RSRC2:USER_SGPR: 2
; COMPUTE_PGM_RSRC2:TRAP_HANDLER: 0
; COMPUTE_PGM_RSRC2:TGID_X_EN: 1
; COMPUTE_PGM_RSRC2:TGID_Y_EN: 0
; COMPUTE_PGM_RSRC2:TGID_Z_EN: 0
; COMPUTE_PGM_RSRC2:TIDIG_COMP_CNT: 0
	.section	.text._ZN9rocsparseL32kernel_count_diagonal_triangularIL20rocsparse_fill_mode_1ELj1024EliEEvT2_PKT1_PKS2_21rocsparse_index_base_PS2_,"axG",@progbits,_ZN9rocsparseL32kernel_count_diagonal_triangularIL20rocsparse_fill_mode_1ELj1024EliEEvT2_PKT1_PKS2_21rocsparse_index_base_PS2_,comdat
	.globl	_ZN9rocsparseL32kernel_count_diagonal_triangularIL20rocsparse_fill_mode_1ELj1024EliEEvT2_PKT1_PKS2_21rocsparse_index_base_PS2_ ; -- Begin function _ZN9rocsparseL32kernel_count_diagonal_triangularIL20rocsparse_fill_mode_1ELj1024EliEEvT2_PKT1_PKS2_21rocsparse_index_base_PS2_
	.p2align	8
	.type	_ZN9rocsparseL32kernel_count_diagonal_triangularIL20rocsparse_fill_mode_1ELj1024EliEEvT2_PKT1_PKS2_21rocsparse_index_base_PS2_,@function
_ZN9rocsparseL32kernel_count_diagonal_triangularIL20rocsparse_fill_mode_1ELj1024EliEEvT2_PKT1_PKS2_21rocsparse_index_base_PS2_: ; @_ZN9rocsparseL32kernel_count_diagonal_triangularIL20rocsparse_fill_mode_1ELj1024EliEEvT2_PKT1_PKS2_21rocsparse_index_base_PS2_
; %bb.0:
	s_load_b32 s2, s[0:1], 0x0
	s_bfe_u32 s3, ttmp6, 0x4000c
	s_and_b32 s4, ttmp6, 15
	s_add_co_i32 s3, s3, 1
	s_getreg_b32 s5, hwreg(HW_REG_IB_STS2, 6, 4)
	s_mul_i32 s3, ttmp9, s3
	s_delay_alu instid0(SALU_CYCLE_1) | instskip(SKIP_2) | instid1(SALU_CYCLE_1)
	s_add_co_i32 s4, s4, s3
	s_cmp_eq_u32 s5, 0
	s_cselect_b32 s3, ttmp9, s4
	v_lshl_or_b32 v0, s3, 10, v0
	s_mov_b32 s3, 0
	s_wait_kmcnt 0x0
	s_delay_alu instid0(VALU_DEP_1)
	v_cmp_gt_i32_e32 vcc_lo, s2, v0
	s_and_saveexec_b32 s2, vcc_lo
	s_cbranch_execz .LBB13_4
; %bb.1:
	s_clause 0x1
	s_load_b128 s[4:7], s[0:1], 0x8
	s_load_b32 s2, s[0:1], 0x18
	s_wait_kmcnt 0x0
	global_load_b64 v[2:3], v0, s[4:5] scale_offset
	s_wait_loadcnt 0x0
	v_sub_nc_u64_e64 v[2:3], v[2:3], s[2:3]
	s_delay_alu instid0(VALU_DEP_1) | instskip(SKIP_3) | instid1(VALU_DEP_1)
	v_lshl_add_u64 v[2:3], v[2:3], 2, s[6:7]
	global_load_b32 v1, v[2:3], off
	s_wait_loadcnt 0x0
	v_subrev_nc_u32_e32 v1, s2, v1
	v_cmp_eq_u32_e32 vcc_lo, v1, v0
	s_and_b32 exec_lo, exec_lo, vcc_lo
	s_cbranch_execz .LBB13_4
; %bb.2:
	s_mov_b32 s2, exec_lo
	s_delay_alu instid0(SALU_CYCLE_1) | instskip(NEXT) | instid1(VALU_DEP_1)
	v_mbcnt_lo_u32_b32 v0, s2, 0
	v_cmp_eq_u32_e32 vcc_lo, 0, v0
	s_and_b32 s3, exec_lo, vcc_lo
	s_delay_alu instid0(SALU_CYCLE_1)
	s_mov_b32 exec_lo, s3
	s_cbranch_execz .LBB13_4
; %bb.3:
	s_load_b64 s[0:1], s[0:1], 0x20
	s_bcnt1_i32_b32 s2, s2
	s_delay_alu instid0(SALU_CYCLE_1)
	v_dual_mov_b32 v0, 0 :: v_dual_mov_b32 v1, s2
	s_wait_xcnt 0x0
	s_wait_kmcnt 0x0
	global_atomic_add_u32 v0, v1, s[0:1] scope:SCOPE_DEV
.LBB13_4:
	s_endpgm
	.section	.rodata,"a",@progbits
	.p2align	6, 0x0
	.amdhsa_kernel _ZN9rocsparseL32kernel_count_diagonal_triangularIL20rocsparse_fill_mode_1ELj1024EliEEvT2_PKT1_PKS2_21rocsparse_index_base_PS2_
		.amdhsa_group_segment_fixed_size 0
		.amdhsa_private_segment_fixed_size 0
		.amdhsa_kernarg_size 40
		.amdhsa_user_sgpr_count 2
		.amdhsa_user_sgpr_dispatch_ptr 0
		.amdhsa_user_sgpr_queue_ptr 0
		.amdhsa_user_sgpr_kernarg_segment_ptr 1
		.amdhsa_user_sgpr_dispatch_id 0
		.amdhsa_user_sgpr_kernarg_preload_length 0
		.amdhsa_user_sgpr_kernarg_preload_offset 0
		.amdhsa_user_sgpr_private_segment_size 0
		.amdhsa_wavefront_size32 1
		.amdhsa_uses_dynamic_stack 0
		.amdhsa_enable_private_segment 0
		.amdhsa_system_sgpr_workgroup_id_x 1
		.amdhsa_system_sgpr_workgroup_id_y 0
		.amdhsa_system_sgpr_workgroup_id_z 0
		.amdhsa_system_sgpr_workgroup_info 0
		.amdhsa_system_vgpr_workitem_id 0
		.amdhsa_next_free_vgpr 4
		.amdhsa_next_free_sgpr 8
		.amdhsa_named_barrier_count 0
		.amdhsa_reserve_vcc 1
		.amdhsa_float_round_mode_32 0
		.amdhsa_float_round_mode_16_64 0
		.amdhsa_float_denorm_mode_32 3
		.amdhsa_float_denorm_mode_16_64 3
		.amdhsa_fp16_overflow 0
		.amdhsa_memory_ordered 1
		.amdhsa_forward_progress 1
		.amdhsa_inst_pref_size 2
		.amdhsa_round_robin_scheduling 0
		.amdhsa_exception_fp_ieee_invalid_op 0
		.amdhsa_exception_fp_denorm_src 0
		.amdhsa_exception_fp_ieee_div_zero 0
		.amdhsa_exception_fp_ieee_overflow 0
		.amdhsa_exception_fp_ieee_underflow 0
		.amdhsa_exception_fp_ieee_inexact 0
		.amdhsa_exception_int_div_zero 0
	.end_amdhsa_kernel
	.section	.text._ZN9rocsparseL32kernel_count_diagonal_triangularIL20rocsparse_fill_mode_1ELj1024EliEEvT2_PKT1_PKS2_21rocsparse_index_base_PS2_,"axG",@progbits,_ZN9rocsparseL32kernel_count_diagonal_triangularIL20rocsparse_fill_mode_1ELj1024EliEEvT2_PKT1_PKS2_21rocsparse_index_base_PS2_,comdat
.Lfunc_end13:
	.size	_ZN9rocsparseL32kernel_count_diagonal_triangularIL20rocsparse_fill_mode_1ELj1024EliEEvT2_PKT1_PKS2_21rocsparse_index_base_PS2_, .Lfunc_end13-_ZN9rocsparseL32kernel_count_diagonal_triangularIL20rocsparse_fill_mode_1ELj1024EliEEvT2_PKT1_PKS2_21rocsparse_index_base_PS2_
                                        ; -- End function
	.set _ZN9rocsparseL32kernel_count_diagonal_triangularIL20rocsparse_fill_mode_1ELj1024EliEEvT2_PKT1_PKS2_21rocsparse_index_base_PS2_.num_vgpr, 4
	.set _ZN9rocsparseL32kernel_count_diagonal_triangularIL20rocsparse_fill_mode_1ELj1024EliEEvT2_PKT1_PKS2_21rocsparse_index_base_PS2_.num_agpr, 0
	.set _ZN9rocsparseL32kernel_count_diagonal_triangularIL20rocsparse_fill_mode_1ELj1024EliEEvT2_PKT1_PKS2_21rocsparse_index_base_PS2_.numbered_sgpr, 8
	.set _ZN9rocsparseL32kernel_count_diagonal_triangularIL20rocsparse_fill_mode_1ELj1024EliEEvT2_PKT1_PKS2_21rocsparse_index_base_PS2_.num_named_barrier, 0
	.set _ZN9rocsparseL32kernel_count_diagonal_triangularIL20rocsparse_fill_mode_1ELj1024EliEEvT2_PKT1_PKS2_21rocsparse_index_base_PS2_.private_seg_size, 0
	.set _ZN9rocsparseL32kernel_count_diagonal_triangularIL20rocsparse_fill_mode_1ELj1024EliEEvT2_PKT1_PKS2_21rocsparse_index_base_PS2_.uses_vcc, 1
	.set _ZN9rocsparseL32kernel_count_diagonal_triangularIL20rocsparse_fill_mode_1ELj1024EliEEvT2_PKT1_PKS2_21rocsparse_index_base_PS2_.uses_flat_scratch, 0
	.set _ZN9rocsparseL32kernel_count_diagonal_triangularIL20rocsparse_fill_mode_1ELj1024EliEEvT2_PKT1_PKS2_21rocsparse_index_base_PS2_.has_dyn_sized_stack, 0
	.set _ZN9rocsparseL32kernel_count_diagonal_triangularIL20rocsparse_fill_mode_1ELj1024EliEEvT2_PKT1_PKS2_21rocsparse_index_base_PS2_.has_recursion, 0
	.set _ZN9rocsparseL32kernel_count_diagonal_triangularIL20rocsparse_fill_mode_1ELj1024EliEEvT2_PKT1_PKS2_21rocsparse_index_base_PS2_.has_indirect_call, 0
	.section	.AMDGPU.csdata,"",@progbits
; Kernel info:
; codeLenInByte = 256
; TotalNumSgprs: 10
; NumVgprs: 4
; ScratchSize: 0
; MemoryBound: 0
; FloatMode: 240
; IeeeMode: 1
; LDSByteSize: 0 bytes/workgroup (compile time only)
; SGPRBlocks: 0
; VGPRBlocks: 0
; NumSGPRsForWavesPerEU: 10
; NumVGPRsForWavesPerEU: 4
; NamedBarCnt: 0
; Occupancy: 16
; WaveLimiterHint : 1
; COMPUTE_PGM_RSRC2:SCRATCH_EN: 0
; COMPUTE_PGM_RSRC2:USER_SGPR: 2
; COMPUTE_PGM_RSRC2:TRAP_HANDLER: 0
; COMPUTE_PGM_RSRC2:TGID_X_EN: 1
; COMPUTE_PGM_RSRC2:TGID_Y_EN: 0
; COMPUTE_PGM_RSRC2:TGID_Z_EN: 0
; COMPUTE_PGM_RSRC2:TIDIG_COMP_CNT: 0
	.section	.text._ZN9rocsparseL19kernel_ptr_end_unitILj1024EllEEvT1_PKT0_PKS1_PS2_21rocsparse_index_base_,"axG",@progbits,_ZN9rocsparseL19kernel_ptr_end_unitILj1024EllEEvT1_PKT0_PKS1_PS2_21rocsparse_index_base_,comdat
	.globl	_ZN9rocsparseL19kernel_ptr_end_unitILj1024EllEEvT1_PKT0_PKS1_PS2_21rocsparse_index_base_ ; -- Begin function _ZN9rocsparseL19kernel_ptr_end_unitILj1024EllEEvT1_PKT0_PKS1_PS2_21rocsparse_index_base_
	.p2align	8
	.type	_ZN9rocsparseL19kernel_ptr_end_unitILj1024EllEEvT1_PKT0_PKS1_PS2_21rocsparse_index_base_,@function
_ZN9rocsparseL19kernel_ptr_end_unitILj1024EllEEvT1_PKT0_PKS1_PS2_21rocsparse_index_base_: ; @_ZN9rocsparseL19kernel_ptr_end_unitILj1024EllEEvT1_PKT0_PKS1_PS2_21rocsparse_index_base_
; %bb.0:
	s_load_b64 s[2:3], s[0:1], 0x0
	s_bfe_u32 s4, ttmp6, 0x4000c
	s_and_b32 s5, ttmp6, 15
	s_add_co_i32 s4, s4, 1
	s_getreg_b32 s6, hwreg(HW_REG_IB_STS2, 6, 4)
	s_mul_i32 s4, ttmp9, s4
	v_mov_b32_e32 v7, 0
	s_add_co_i32 s5, s5, s4
	s_cmp_eq_u32 s6, 0
	s_cselect_b32 s4, ttmp9, s5
	s_delay_alu instid0(SALU_CYCLE_1) | instskip(SKIP_1) | instid1(VALU_DEP_1)
	v_lshl_or_b32 v6, s4, 10, v0
	s_wait_kmcnt 0x0
	v_cmp_gt_i64_e32 vcc_lo, s[2:3], v[6:7]
	s_and_saveexec_b32 s2, vcc_lo
	s_cbranch_execz .LBB14_8
; %bb.1:
	s_clause 0x1
	s_load_b64 s[2:3], s[0:1], 0x8
	s_load_b64 s[4:5], s[0:1], 0x18
	v_lshlrev_b64_e32 v[4:5], 3, v[6:7]
	s_wait_kmcnt 0x0
	s_delay_alu instid0(VALU_DEP_1)
	v_add_nc_u64_e32 v[0:1], s[2:3], v[4:5]
	v_add_nc_u64_e32 v[4:5], s[4:5], v[4:5]
	global_load_b128 v[0:3], v[0:1], off
	s_wait_loadcnt 0x0
	v_cmp_lt_i64_e32 vcc_lo, v[0:1], v[2:3]
	global_store_b64 v[4:5], v[2:3], off
	s_wait_xcnt 0x0
	s_and_b32 exec_lo, exec_lo, vcc_lo
	s_cbranch_execz .LBB14_8
; %bb.2:
	s_clause 0x1
	s_load_b32 s2, s[0:1], 0x20
	s_load_b64 s[4:5], s[0:1], 0x10
	v_lshlrev_b64_e32 v[8:9], 3, v[0:1]
	s_mov_b32 s3, 0
	s_wait_kmcnt 0x0
	s_lshl_b64 s[0:1], s[2:3], 3
	v_sub_nc_u64_e64 v[2:3], v[2:3], s[2:3]
	s_delay_alu instid0(VALU_DEP_2) | instskip(SKIP_3) | instid1(VALU_DEP_3)
	v_sub_nc_u64_e64 v[10:11], v[8:9], s[0:1]
	v_add_nc_u64_e32 v[6:7], s[2:3], v[6:7]
	v_sub_nc_u64_e64 v[8:9], v[0:1], s[2:3]
	s_mov_b32 s0, s3
                                        ; implicit-def: $sgpr1
	v_add_nc_u64_e32 v[0:1], s[4:5], v[10:11]
                                        ; implicit-def: $sgpr5
                                        ; implicit-def: $sgpr4
	s_branch .LBB14_4
.LBB14_3:                               ;   in Loop: Header=BB14_4 Depth=1
	s_or_b32 exec_lo, exec_lo, s6
	s_delay_alu instid0(SALU_CYCLE_1) | instskip(NEXT) | instid1(SALU_CYCLE_1)
	s_and_b32 s6, exec_lo, s5
	s_or_b32 s0, s6, s0
	s_and_not1_b32 s1, s1, exec_lo
	s_and_b32 s6, s4, exec_lo
	s_delay_alu instid0(SALU_CYCLE_1)
	s_or_b32 s1, s1, s6
	s_and_not1_b32 exec_lo, exec_lo, s0
	s_cbranch_execz .LBB14_6
.LBB14_4:                               ; =>This Inner Loop Header: Depth=1
	global_load_b64 v[10:11], v[0:1], off
	s_or_b32 s4, s4, exec_lo
	s_or_b32 s5, s5, exec_lo
	s_wait_loadcnt 0x0
	v_cmp_lt_i64_e32 vcc_lo, v[10:11], v[6:7]
	v_mov_b64_e32 v[10:11], v[8:9]
                                        ; implicit-def: $vgpr8_vgpr9
	s_wait_xcnt 0x0
	s_and_saveexec_b32 s6, vcc_lo
	s_cbranch_execz .LBB14_3
; %bb.5:                                ;   in Loop: Header=BB14_4 Depth=1
	s_delay_alu instid0(VALU_DEP_1) | instskip(SKIP_3) | instid1(VALU_DEP_2)
	v_add_nc_u64_e32 v[8:9], 1, v[10:11]
	v_add_nc_u64_e32 v[0:1], 8, v[0:1]
	s_and_not1_b32 s5, s5, exec_lo
	s_and_not1_b32 s4, s4, exec_lo
	v_cmp_ge_i64_e32 vcc_lo, v[8:9], v[2:3]
	s_and_b32 s7, vcc_lo, exec_lo
	s_delay_alu instid0(SALU_CYCLE_1)
	s_or_b32 s5, s5, s7
	s_branch .LBB14_3
.LBB14_6:
	s_or_b32 exec_lo, exec_lo, s0
	s_and_saveexec_b32 s0, s1
	s_delay_alu instid0(SALU_CYCLE_1)
	s_xor_b32 s0, exec_lo, s0
	s_cbranch_execz .LBB14_8
; %bb.7:
	v_add_nc_u64_e32 v[0:1], s[2:3], v[10:11]
	global_store_b64 v[4:5], v[0:1], off
.LBB14_8:
	s_endpgm
	.section	.rodata,"a",@progbits
	.p2align	6, 0x0
	.amdhsa_kernel _ZN9rocsparseL19kernel_ptr_end_unitILj1024EllEEvT1_PKT0_PKS1_PS2_21rocsparse_index_base_
		.amdhsa_group_segment_fixed_size 0
		.amdhsa_private_segment_fixed_size 0
		.amdhsa_kernarg_size 36
		.amdhsa_user_sgpr_count 2
		.amdhsa_user_sgpr_dispatch_ptr 0
		.amdhsa_user_sgpr_queue_ptr 0
		.amdhsa_user_sgpr_kernarg_segment_ptr 1
		.amdhsa_user_sgpr_dispatch_id 0
		.amdhsa_user_sgpr_kernarg_preload_length 0
		.amdhsa_user_sgpr_kernarg_preload_offset 0
		.amdhsa_user_sgpr_private_segment_size 0
		.amdhsa_wavefront_size32 1
		.amdhsa_uses_dynamic_stack 0
		.amdhsa_enable_private_segment 0
		.amdhsa_system_sgpr_workgroup_id_x 1
		.amdhsa_system_sgpr_workgroup_id_y 0
		.amdhsa_system_sgpr_workgroup_id_z 0
		.amdhsa_system_sgpr_workgroup_info 0
		.amdhsa_system_vgpr_workitem_id 0
		.amdhsa_next_free_vgpr 12
		.amdhsa_next_free_sgpr 8
		.amdhsa_named_barrier_count 0
		.amdhsa_reserve_vcc 1
		.amdhsa_float_round_mode_32 0
		.amdhsa_float_round_mode_16_64 0
		.amdhsa_float_denorm_mode_32 3
		.amdhsa_float_denorm_mode_16_64 3
		.amdhsa_fp16_overflow 0
		.amdhsa_memory_ordered 1
		.amdhsa_forward_progress 1
		.amdhsa_inst_pref_size 4
		.amdhsa_round_robin_scheduling 0
		.amdhsa_exception_fp_ieee_invalid_op 0
		.amdhsa_exception_fp_denorm_src 0
		.amdhsa_exception_fp_ieee_div_zero 0
		.amdhsa_exception_fp_ieee_overflow 0
		.amdhsa_exception_fp_ieee_underflow 0
		.amdhsa_exception_fp_ieee_inexact 0
		.amdhsa_exception_int_div_zero 0
	.end_amdhsa_kernel
	.section	.text._ZN9rocsparseL19kernel_ptr_end_unitILj1024EllEEvT1_PKT0_PKS1_PS2_21rocsparse_index_base_,"axG",@progbits,_ZN9rocsparseL19kernel_ptr_end_unitILj1024EllEEvT1_PKT0_PKS1_PS2_21rocsparse_index_base_,comdat
.Lfunc_end14:
	.size	_ZN9rocsparseL19kernel_ptr_end_unitILj1024EllEEvT1_PKT0_PKS1_PS2_21rocsparse_index_base_, .Lfunc_end14-_ZN9rocsparseL19kernel_ptr_end_unitILj1024EllEEvT1_PKT0_PKS1_PS2_21rocsparse_index_base_
                                        ; -- End function
	.set _ZN9rocsparseL19kernel_ptr_end_unitILj1024EllEEvT1_PKT0_PKS1_PS2_21rocsparse_index_base_.num_vgpr, 12
	.set _ZN9rocsparseL19kernel_ptr_end_unitILj1024EllEEvT1_PKT0_PKS1_PS2_21rocsparse_index_base_.num_agpr, 0
	.set _ZN9rocsparseL19kernel_ptr_end_unitILj1024EllEEvT1_PKT0_PKS1_PS2_21rocsparse_index_base_.numbered_sgpr, 8
	.set _ZN9rocsparseL19kernel_ptr_end_unitILj1024EllEEvT1_PKT0_PKS1_PS2_21rocsparse_index_base_.num_named_barrier, 0
	.set _ZN9rocsparseL19kernel_ptr_end_unitILj1024EllEEvT1_PKT0_PKS1_PS2_21rocsparse_index_base_.private_seg_size, 0
	.set _ZN9rocsparseL19kernel_ptr_end_unitILj1024EllEEvT1_PKT0_PKS1_PS2_21rocsparse_index_base_.uses_vcc, 1
	.set _ZN9rocsparseL19kernel_ptr_end_unitILj1024EllEEvT1_PKT0_PKS1_PS2_21rocsparse_index_base_.uses_flat_scratch, 0
	.set _ZN9rocsparseL19kernel_ptr_end_unitILj1024EllEEvT1_PKT0_PKS1_PS2_21rocsparse_index_base_.has_dyn_sized_stack, 0
	.set _ZN9rocsparseL19kernel_ptr_end_unitILj1024EllEEvT1_PKT0_PKS1_PS2_21rocsparse_index_base_.has_recursion, 0
	.set _ZN9rocsparseL19kernel_ptr_end_unitILj1024EllEEvT1_PKT0_PKS1_PS2_21rocsparse_index_base_.has_indirect_call, 0
	.section	.AMDGPU.csdata,"",@progbits
; Kernel info:
; codeLenInByte = 404
; TotalNumSgprs: 10
; NumVgprs: 12
; ScratchSize: 0
; MemoryBound: 0
; FloatMode: 240
; IeeeMode: 1
; LDSByteSize: 0 bytes/workgroup (compile time only)
; SGPRBlocks: 0
; VGPRBlocks: 0
; NumSGPRsForWavesPerEU: 10
; NumVGPRsForWavesPerEU: 12
; NamedBarCnt: 0
; Occupancy: 16
; WaveLimiterHint : 0
; COMPUTE_PGM_RSRC2:SCRATCH_EN: 0
; COMPUTE_PGM_RSRC2:USER_SGPR: 2
; COMPUTE_PGM_RSRC2:TRAP_HANDLER: 0
; COMPUTE_PGM_RSRC2:TGID_X_EN: 1
; COMPUTE_PGM_RSRC2:TGID_Y_EN: 0
; COMPUTE_PGM_RSRC2:TGID_Z_EN: 0
; COMPUTE_PGM_RSRC2:TIDIG_COMP_CNT: 0
	.section	.text._ZN9rocsparseL23kernel_ptr_end_non_unitILj1024EllEEvT1_PKT0_PKS1_PS2_21rocsparse_index_base_,"axG",@progbits,_ZN9rocsparseL23kernel_ptr_end_non_unitILj1024EllEEvT1_PKT0_PKS1_PS2_21rocsparse_index_base_,comdat
	.globl	_ZN9rocsparseL23kernel_ptr_end_non_unitILj1024EllEEvT1_PKT0_PKS1_PS2_21rocsparse_index_base_ ; -- Begin function _ZN9rocsparseL23kernel_ptr_end_non_unitILj1024EllEEvT1_PKT0_PKS1_PS2_21rocsparse_index_base_
	.p2align	8
	.type	_ZN9rocsparseL23kernel_ptr_end_non_unitILj1024EllEEvT1_PKT0_PKS1_PS2_21rocsparse_index_base_,@function
_ZN9rocsparseL23kernel_ptr_end_non_unitILj1024EllEEvT1_PKT0_PKS1_PS2_21rocsparse_index_base_: ; @_ZN9rocsparseL23kernel_ptr_end_non_unitILj1024EllEEvT1_PKT0_PKS1_PS2_21rocsparse_index_base_
; %bb.0:
	s_load_b64 s[2:3], s[0:1], 0x0
	s_bfe_u32 s4, ttmp6, 0x4000c
	s_and_b32 s5, ttmp6, 15
	s_add_co_i32 s4, s4, 1
	s_getreg_b32 s6, hwreg(HW_REG_IB_STS2, 6, 4)
	s_mul_i32 s4, ttmp9, s4
	v_mov_b32_e32 v5, 0
	s_add_co_i32 s5, s5, s4
	s_cmp_eq_u32 s6, 0
	s_cselect_b32 s4, ttmp9, s5
	s_delay_alu instid0(SALU_CYCLE_1) | instskip(SKIP_1) | instid1(VALU_DEP_1)
	v_lshl_or_b32 v4, s4, 10, v0
	s_wait_kmcnt 0x0
	v_cmp_gt_i64_e32 vcc_lo, s[2:3], v[4:5]
	s_and_saveexec_b32 s2, vcc_lo
	s_cbranch_execz .LBB15_8
; %bb.1:
	s_clause 0x1
	s_load_b64 s[2:3], s[0:1], 0x8
	s_load_b64 s[4:5], s[0:1], 0x18
	v_lshlrev_b64_e32 v[0:1], 3, v[4:5]
	v_add_nc_u32_e32 v10, 1, v4
	s_wait_kmcnt 0x0
	s_delay_alu instid0(VALU_DEP_2)
	v_add_nc_u64_e32 v[8:9], s[2:3], v[0:1]
	v_add_nc_u64_e32 v[0:1], s[4:5], v[0:1]
	s_clause 0x1
	global_load_b64 v[2:3], v10, s[2:3] scale_offset
	global_load_b64 v[6:7], v[8:9], off
	s_wait_loadcnt 0x1
	global_store_b64 v[0:1], v[2:3], off
	s_wait_loadcnt 0x0
	v_cmp_lt_i64_e32 vcc_lo, v[6:7], v[2:3]
	s_wait_xcnt 0x0
	s_and_b32 exec_lo, exec_lo, vcc_lo
	s_cbranch_execz .LBB15_8
; %bb.2:
	s_clause 0x1
	s_load_b32 s2, s[0:1], 0x20
	s_load_b64 s[4:5], s[0:1], 0x10
	v_lshlrev_b64_e32 v[8:9], 3, v[6:7]
	s_mov_b32 s3, 0
	s_wait_kmcnt 0x0
	s_lshl_b64 s[0:1], s[2:3], 3
	v_sub_nc_u64_e64 v[2:3], v[2:3], s[2:3]
	s_delay_alu instid0(VALU_DEP_2) | instskip(SKIP_3) | instid1(VALU_DEP_3)
	v_sub_nc_u64_e64 v[10:11], v[8:9], s[0:1]
	v_add_nc_u64_e32 v[4:5], s[2:3], v[4:5]
	v_sub_nc_u64_e64 v[8:9], v[6:7], s[2:3]
	s_mov_b32 s0, s3
                                        ; implicit-def: $sgpr1
	v_add_nc_u64_e32 v[6:7], s[4:5], v[10:11]
                                        ; implicit-def: $sgpr5
                                        ; implicit-def: $sgpr4
	s_branch .LBB15_4
.LBB15_3:                               ;   in Loop: Header=BB15_4 Depth=1
	s_or_b32 exec_lo, exec_lo, s6
	s_delay_alu instid0(SALU_CYCLE_1) | instskip(NEXT) | instid1(SALU_CYCLE_1)
	s_and_b32 s6, exec_lo, s5
	s_or_b32 s0, s6, s0
	s_and_not1_b32 s1, s1, exec_lo
	s_and_b32 s6, s4, exec_lo
	s_delay_alu instid0(SALU_CYCLE_1)
	s_or_b32 s1, s1, s6
	s_and_not1_b32 exec_lo, exec_lo, s0
	s_cbranch_execz .LBB15_6
.LBB15_4:                               ; =>This Inner Loop Header: Depth=1
	global_load_b64 v[10:11], v[6:7], off
	s_or_b32 s4, s4, exec_lo
	s_or_b32 s5, s5, exec_lo
	s_wait_loadcnt 0x0
	v_cmp_le_i64_e32 vcc_lo, v[10:11], v[4:5]
	v_mov_b64_e32 v[10:11], v[8:9]
                                        ; implicit-def: $vgpr8_vgpr9
	s_wait_xcnt 0x0
	s_and_saveexec_b32 s6, vcc_lo
	s_cbranch_execz .LBB15_3
; %bb.5:                                ;   in Loop: Header=BB15_4 Depth=1
	s_delay_alu instid0(VALU_DEP_1) | instskip(SKIP_3) | instid1(VALU_DEP_2)
	v_add_nc_u64_e32 v[8:9], 1, v[10:11]
	v_add_nc_u64_e32 v[6:7], 8, v[6:7]
	s_and_not1_b32 s5, s5, exec_lo
	s_and_not1_b32 s4, s4, exec_lo
	v_cmp_ge_i64_e32 vcc_lo, v[8:9], v[2:3]
	s_and_b32 s7, vcc_lo, exec_lo
	s_delay_alu instid0(SALU_CYCLE_1)
	s_or_b32 s5, s5, s7
	s_branch .LBB15_3
.LBB15_6:
	s_or_b32 exec_lo, exec_lo, s0
	s_and_saveexec_b32 s0, s1
	s_delay_alu instid0(SALU_CYCLE_1)
	s_xor_b32 s0, exec_lo, s0
	s_cbranch_execz .LBB15_8
; %bb.7:
	v_add_nc_u64_e32 v[2:3], s[2:3], v[10:11]
	global_store_b64 v[0:1], v[2:3], off
.LBB15_8:
	s_endpgm
	.section	.rodata,"a",@progbits
	.p2align	6, 0x0
	.amdhsa_kernel _ZN9rocsparseL23kernel_ptr_end_non_unitILj1024EllEEvT1_PKT0_PKS1_PS2_21rocsparse_index_base_
		.amdhsa_group_segment_fixed_size 0
		.amdhsa_private_segment_fixed_size 0
		.amdhsa_kernarg_size 36
		.amdhsa_user_sgpr_count 2
		.amdhsa_user_sgpr_dispatch_ptr 0
		.amdhsa_user_sgpr_queue_ptr 0
		.amdhsa_user_sgpr_kernarg_segment_ptr 1
		.amdhsa_user_sgpr_dispatch_id 0
		.amdhsa_user_sgpr_kernarg_preload_length 0
		.amdhsa_user_sgpr_kernarg_preload_offset 0
		.amdhsa_user_sgpr_private_segment_size 0
		.amdhsa_wavefront_size32 1
		.amdhsa_uses_dynamic_stack 0
		.amdhsa_enable_private_segment 0
		.amdhsa_system_sgpr_workgroup_id_x 1
		.amdhsa_system_sgpr_workgroup_id_y 0
		.amdhsa_system_sgpr_workgroup_id_z 0
		.amdhsa_system_sgpr_workgroup_info 0
		.amdhsa_system_vgpr_workitem_id 0
		.amdhsa_next_free_vgpr 12
		.amdhsa_next_free_sgpr 8
		.amdhsa_named_barrier_count 0
		.amdhsa_reserve_vcc 1
		.amdhsa_float_round_mode_32 0
		.amdhsa_float_round_mode_16_64 0
		.amdhsa_float_denorm_mode_32 3
		.amdhsa_float_denorm_mode_16_64 3
		.amdhsa_fp16_overflow 0
		.amdhsa_memory_ordered 1
		.amdhsa_forward_progress 1
		.amdhsa_inst_pref_size 4
		.amdhsa_round_robin_scheduling 0
		.amdhsa_exception_fp_ieee_invalid_op 0
		.amdhsa_exception_fp_denorm_src 0
		.amdhsa_exception_fp_ieee_div_zero 0
		.amdhsa_exception_fp_ieee_overflow 0
		.amdhsa_exception_fp_ieee_underflow 0
		.amdhsa_exception_fp_ieee_inexact 0
		.amdhsa_exception_int_div_zero 0
	.end_amdhsa_kernel
	.section	.text._ZN9rocsparseL23kernel_ptr_end_non_unitILj1024EllEEvT1_PKT0_PKS1_PS2_21rocsparse_index_base_,"axG",@progbits,_ZN9rocsparseL23kernel_ptr_end_non_unitILj1024EllEEvT1_PKT0_PKS1_PS2_21rocsparse_index_base_,comdat
.Lfunc_end15:
	.size	_ZN9rocsparseL23kernel_ptr_end_non_unitILj1024EllEEvT1_PKT0_PKS1_PS2_21rocsparse_index_base_, .Lfunc_end15-_ZN9rocsparseL23kernel_ptr_end_non_unitILj1024EllEEvT1_PKT0_PKS1_PS2_21rocsparse_index_base_
                                        ; -- End function
	.set _ZN9rocsparseL23kernel_ptr_end_non_unitILj1024EllEEvT1_PKT0_PKS1_PS2_21rocsparse_index_base_.num_vgpr, 12
	.set _ZN9rocsparseL23kernel_ptr_end_non_unitILj1024EllEEvT1_PKT0_PKS1_PS2_21rocsparse_index_base_.num_agpr, 0
	.set _ZN9rocsparseL23kernel_ptr_end_non_unitILj1024EllEEvT1_PKT0_PKS1_PS2_21rocsparse_index_base_.numbered_sgpr, 8
	.set _ZN9rocsparseL23kernel_ptr_end_non_unitILj1024EllEEvT1_PKT0_PKS1_PS2_21rocsparse_index_base_.num_named_barrier, 0
	.set _ZN9rocsparseL23kernel_ptr_end_non_unitILj1024EllEEvT1_PKT0_PKS1_PS2_21rocsparse_index_base_.private_seg_size, 0
	.set _ZN9rocsparseL23kernel_ptr_end_non_unitILj1024EllEEvT1_PKT0_PKS1_PS2_21rocsparse_index_base_.uses_vcc, 1
	.set _ZN9rocsparseL23kernel_ptr_end_non_unitILj1024EllEEvT1_PKT0_PKS1_PS2_21rocsparse_index_base_.uses_flat_scratch, 0
	.set _ZN9rocsparseL23kernel_ptr_end_non_unitILj1024EllEEvT1_PKT0_PKS1_PS2_21rocsparse_index_base_.has_dyn_sized_stack, 0
	.set _ZN9rocsparseL23kernel_ptr_end_non_unitILj1024EllEEvT1_PKT0_PKS1_PS2_21rocsparse_index_base_.has_recursion, 0
	.set _ZN9rocsparseL23kernel_ptr_end_non_unitILj1024EllEEvT1_PKT0_PKS1_PS2_21rocsparse_index_base_.has_indirect_call, 0
	.section	.AMDGPU.csdata,"",@progbits
; Kernel info:
; codeLenInByte = 428
; TotalNumSgprs: 10
; NumVgprs: 12
; ScratchSize: 0
; MemoryBound: 0
; FloatMode: 240
; IeeeMode: 1
; LDSByteSize: 0 bytes/workgroup (compile time only)
; SGPRBlocks: 0
; VGPRBlocks: 0
; NumSGPRsForWavesPerEU: 10
; NumVGPRsForWavesPerEU: 12
; NamedBarCnt: 0
; Occupancy: 16
; WaveLimiterHint : 0
; COMPUTE_PGM_RSRC2:SCRATCH_EN: 0
; COMPUTE_PGM_RSRC2:USER_SGPR: 2
; COMPUTE_PGM_RSRC2:TRAP_HANDLER: 0
; COMPUTE_PGM_RSRC2:TGID_X_EN: 1
; COMPUTE_PGM_RSRC2:TGID_Y_EN: 0
; COMPUTE_PGM_RSRC2:TGID_Z_EN: 0
; COMPUTE_PGM_RSRC2:TIDIG_COMP_CNT: 0
	.section	.text._ZN9rocsparseL29kernel_count_missing_diagonalILj1024EllEEvT1_PKT0_S1_PKS1_21rocsparse_index_base_PS1_Pi,"axG",@progbits,_ZN9rocsparseL29kernel_count_missing_diagonalILj1024EllEEvT1_PKT0_S1_PKS1_21rocsparse_index_base_PS1_Pi,comdat
	.globl	_ZN9rocsparseL29kernel_count_missing_diagonalILj1024EllEEvT1_PKT0_S1_PKS1_21rocsparse_index_base_PS1_Pi ; -- Begin function _ZN9rocsparseL29kernel_count_missing_diagonalILj1024EllEEvT1_PKT0_S1_PKS1_21rocsparse_index_base_PS1_Pi
	.p2align	8
	.type	_ZN9rocsparseL29kernel_count_missing_diagonalILj1024EllEEvT1_PKT0_S1_PKS1_21rocsparse_index_base_PS1_Pi,@function
_ZN9rocsparseL29kernel_count_missing_diagonalILj1024EllEEvT1_PKT0_S1_PKS1_21rocsparse_index_base_PS1_Pi: ; @_ZN9rocsparseL29kernel_count_missing_diagonalILj1024EllEEvT1_PKT0_S1_PKS1_21rocsparse_index_base_PS1_Pi
; %bb.0:
	s_load_b64 s[2:3], s[0:1], 0x0
	s_bfe_u32 s4, ttmp6, 0x4000c
	s_and_b32 s5, ttmp6, 15
	s_add_co_i32 s4, s4, 1
	s_getreg_b32 s6, hwreg(HW_REG_IB_STS2, 6, 4)
	s_mul_i32 s4, ttmp9, s4
	v_mov_b32_e32 v1, 0
	s_add_co_i32 s5, s5, s4
	s_cmp_eq_u32 s6, 0
	s_cselect_b32 s4, ttmp9, s5
	s_delay_alu instid0(SALU_CYCLE_1) | instskip(SKIP_1) | instid1(VALU_DEP_1)
	v_lshl_or_b32 v0, s4, 10, v0
	s_wait_kmcnt 0x0
	v_cmp_gt_i64_e32 vcc_lo, s[2:3], v[0:1]
	s_mov_b32 s3, 0
	s_and_saveexec_b32 s2, vcc_lo
	s_cbranch_execz .LBB16_8
; %bb.1:
	s_clause 0x1
	s_load_b128 s[4:7], s[0:1], 0x8
	s_load_b96 s[8:10], s[0:1], 0x18
	s_wait_kmcnt 0x0
	v_lshl_add_u64 v[2:3], v[0:1], 3, s[4:5]
	s_mov_b32 s2, s10
	global_load_b64 v[2:3], v[2:3], off
	s_wait_loadcnt 0x0
	v_sub_nc_u64_e64 v[2:3], v[2:3], s[2:3]
	s_delay_alu instid0(VALU_DEP_1) | instskip(NEXT) | instid1(VALU_DEP_1)
	v_lshl_add_u64 v[2:3], v[2:3], 3, s[8:9]
	v_lshl_add_u64 v[2:3], s[6:7], 3, v[2:3]
	global_load_b64 v[2:3], v[2:3], off
	s_wait_loadcnt 0x0
	v_sub_nc_u64_e64 v[2:3], v[2:3], s[2:3]
	s_delay_alu instid0(VALU_DEP_1)
	v_cmp_ne_u64_e32 vcc_lo, v[2:3], v[0:1]
	s_and_b32 exec_lo, exec_lo, vcc_lo
	s_cbranch_execz .LBB16_8
; %bb.2:
	s_load_b128 s[4:7], s[0:1], 0x28
	v_add_nc_u32_e32 v0, s10, v0
	s_mov_b32 s2, exec_lo
	s_wait_xcnt 0x0
	s_brev_b32 s0, -2
.LBB16_3:                               ; =>This Inner Loop Header: Depth=1
	s_ctz_i32_b32 s1, s2
	s_delay_alu instid0(SALU_CYCLE_1) | instskip(SKIP_1) | instid1(SALU_CYCLE_1)
	v_readlane_b32 s3, v0, s1
	s_lshl_b32 s1, 1, s1
	s_and_not1_b32 s2, s2, s1
	s_min_i32 s0, s0, s3
	s_cmp_lg_u32 s2, 0
	s_cbranch_scc1 .LBB16_3
; %bb.4:
	v_mbcnt_lo_u32_b32 v0, exec_lo, 0
	s_mov_b32 s1, exec_lo
	s_delay_alu instid0(VALU_DEP_1)
	v_cmpx_eq_u32_e32 0, v0
	s_xor_b32 s1, exec_lo, s1
	s_cbranch_execz .LBB16_6
; %bb.5:
	v_dual_mov_b32 v0, 0 :: v_dual_mov_b32 v1, s0
	s_wait_kmcnt 0x0
	global_atomic_min_i32 v0, v1, s[6:7] scope:SCOPE_DEV
.LBB16_6:
	s_wait_xcnt 0x0
	s_or_b32 exec_lo, exec_lo, s1
	s_delay_alu instid0(SALU_CYCLE_1) | instskip(NEXT) | instid1(SALU_CYCLE_1)
	s_mov_b32 s0, exec_lo
	v_mbcnt_lo_u32_b32 v0, s0, 0
	s_delay_alu instid0(VALU_DEP_1) | instskip(SKIP_1) | instid1(SALU_CYCLE_1)
	v_cmp_eq_u32_e32 vcc_lo, 0, v0
	s_and_b32 s1, exec_lo, vcc_lo
	s_mov_b32 exec_lo, s1
	s_cbranch_execz .LBB16_8
; %bb.7:
	s_bcnt1_i32_b32 s0, s0
	s_delay_alu instid0(SALU_CYCLE_1)
	v_dual_mov_b32 v1, 0 :: v_dual_mov_b32 v0, s0
	s_wait_kmcnt 0x0
	global_atomic_add_u64 v1, v[0:1], s[4:5] scope:SCOPE_DEV
.LBB16_8:
	s_endpgm
	.section	.rodata,"a",@progbits
	.p2align	6, 0x0
	.amdhsa_kernel _ZN9rocsparseL29kernel_count_missing_diagonalILj1024EllEEvT1_PKT0_S1_PKS1_21rocsparse_index_base_PS1_Pi
		.amdhsa_group_segment_fixed_size 0
		.amdhsa_private_segment_fixed_size 0
		.amdhsa_kernarg_size 56
		.amdhsa_user_sgpr_count 2
		.amdhsa_user_sgpr_dispatch_ptr 0
		.amdhsa_user_sgpr_queue_ptr 0
		.amdhsa_user_sgpr_kernarg_segment_ptr 1
		.amdhsa_user_sgpr_dispatch_id 0
		.amdhsa_user_sgpr_kernarg_preload_length 0
		.amdhsa_user_sgpr_kernarg_preload_offset 0
		.amdhsa_user_sgpr_private_segment_size 0
		.amdhsa_wavefront_size32 1
		.amdhsa_uses_dynamic_stack 0
		.amdhsa_enable_private_segment 0
		.amdhsa_system_sgpr_workgroup_id_x 1
		.amdhsa_system_sgpr_workgroup_id_y 0
		.amdhsa_system_sgpr_workgroup_id_z 0
		.amdhsa_system_sgpr_workgroup_info 0
		.amdhsa_system_vgpr_workitem_id 0
		.amdhsa_next_free_vgpr 4
		.amdhsa_next_free_sgpr 11
		.amdhsa_named_barrier_count 0
		.amdhsa_reserve_vcc 1
		.amdhsa_float_round_mode_32 0
		.amdhsa_float_round_mode_16_64 0
		.amdhsa_float_denorm_mode_32 3
		.amdhsa_float_denorm_mode_16_64 3
		.amdhsa_fp16_overflow 0
		.amdhsa_memory_ordered 1
		.amdhsa_forward_progress 1
		.amdhsa_inst_pref_size 4
		.amdhsa_round_robin_scheduling 0
		.amdhsa_exception_fp_ieee_invalid_op 0
		.amdhsa_exception_fp_denorm_src 0
		.amdhsa_exception_fp_ieee_div_zero 0
		.amdhsa_exception_fp_ieee_overflow 0
		.amdhsa_exception_fp_ieee_underflow 0
		.amdhsa_exception_fp_ieee_inexact 0
		.amdhsa_exception_int_div_zero 0
	.end_amdhsa_kernel
	.section	.text._ZN9rocsparseL29kernel_count_missing_diagonalILj1024EllEEvT1_PKT0_S1_PKS1_21rocsparse_index_base_PS1_Pi,"axG",@progbits,_ZN9rocsparseL29kernel_count_missing_diagonalILj1024EllEEvT1_PKT0_S1_PKS1_21rocsparse_index_base_PS1_Pi,comdat
.Lfunc_end16:
	.size	_ZN9rocsparseL29kernel_count_missing_diagonalILj1024EllEEvT1_PKT0_S1_PKS1_21rocsparse_index_base_PS1_Pi, .Lfunc_end16-_ZN9rocsparseL29kernel_count_missing_diagonalILj1024EllEEvT1_PKT0_S1_PKS1_21rocsparse_index_base_PS1_Pi
                                        ; -- End function
	.set _ZN9rocsparseL29kernel_count_missing_diagonalILj1024EllEEvT1_PKT0_S1_PKS1_21rocsparse_index_base_PS1_Pi.num_vgpr, 4
	.set _ZN9rocsparseL29kernel_count_missing_diagonalILj1024EllEEvT1_PKT0_S1_PKS1_21rocsparse_index_base_PS1_Pi.num_agpr, 0
	.set _ZN9rocsparseL29kernel_count_missing_diagonalILj1024EllEEvT1_PKT0_S1_PKS1_21rocsparse_index_base_PS1_Pi.numbered_sgpr, 11
	.set _ZN9rocsparseL29kernel_count_missing_diagonalILj1024EllEEvT1_PKT0_S1_PKS1_21rocsparse_index_base_PS1_Pi.num_named_barrier, 0
	.set _ZN9rocsparseL29kernel_count_missing_diagonalILj1024EllEEvT1_PKT0_S1_PKS1_21rocsparse_index_base_PS1_Pi.private_seg_size, 0
	.set _ZN9rocsparseL29kernel_count_missing_diagonalILj1024EllEEvT1_PKT0_S1_PKS1_21rocsparse_index_base_PS1_Pi.uses_vcc, 1
	.set _ZN9rocsparseL29kernel_count_missing_diagonalILj1024EllEEvT1_PKT0_S1_PKS1_21rocsparse_index_base_PS1_Pi.uses_flat_scratch, 0
	.set _ZN9rocsparseL29kernel_count_missing_diagonalILj1024EllEEvT1_PKT0_S1_PKS1_21rocsparse_index_base_PS1_Pi.has_dyn_sized_stack, 0
	.set _ZN9rocsparseL29kernel_count_missing_diagonalILj1024EllEEvT1_PKT0_S1_PKS1_21rocsparse_index_base_PS1_Pi.has_recursion, 0
	.set _ZN9rocsparseL29kernel_count_missing_diagonalILj1024EllEEvT1_PKT0_S1_PKS1_21rocsparse_index_base_PS1_Pi.has_indirect_call, 0
	.section	.AMDGPU.csdata,"",@progbits
; Kernel info:
; codeLenInByte = 392
; TotalNumSgprs: 13
; NumVgprs: 4
; ScratchSize: 0
; MemoryBound: 0
; FloatMode: 240
; IeeeMode: 1
; LDSByteSize: 0 bytes/workgroup (compile time only)
; SGPRBlocks: 0
; VGPRBlocks: 0
; NumSGPRsForWavesPerEU: 13
; NumVGPRsForWavesPerEU: 4
; NamedBarCnt: 0
; Occupancy: 16
; WaveLimiterHint : 1
; COMPUTE_PGM_RSRC2:SCRATCH_EN: 0
; COMPUTE_PGM_RSRC2:USER_SGPR: 2
; COMPUTE_PGM_RSRC2:TRAP_HANDLER: 0
; COMPUTE_PGM_RSRC2:TGID_X_EN: 1
; COMPUTE_PGM_RSRC2:TGID_Y_EN: 0
; COMPUTE_PGM_RSRC2:TGID_Z_EN: 0
; COMPUTE_PGM_RSRC2:TIDIG_COMP_CNT: 0
	.section	.text._ZN9rocsparseL30kernel_count_missing_diagonal2IL20rocsparse_fill_mode_0ELj1024EllEEvT2_PKT1_PKS2_21rocsparse_index_base_PS2_Pi,"axG",@progbits,_ZN9rocsparseL30kernel_count_missing_diagonal2IL20rocsparse_fill_mode_0ELj1024EllEEvT2_PKT1_PKS2_21rocsparse_index_base_PS2_Pi,comdat
	.globl	_ZN9rocsparseL30kernel_count_missing_diagonal2IL20rocsparse_fill_mode_0ELj1024EllEEvT2_PKT1_PKS2_21rocsparse_index_base_PS2_Pi ; -- Begin function _ZN9rocsparseL30kernel_count_missing_diagonal2IL20rocsparse_fill_mode_0ELj1024EllEEvT2_PKT1_PKS2_21rocsparse_index_base_PS2_Pi
	.p2align	8
	.type	_ZN9rocsparseL30kernel_count_missing_diagonal2IL20rocsparse_fill_mode_0ELj1024EllEEvT2_PKT1_PKS2_21rocsparse_index_base_PS2_Pi,@function
_ZN9rocsparseL30kernel_count_missing_diagonal2IL20rocsparse_fill_mode_0ELj1024EllEEvT2_PKT1_PKS2_21rocsparse_index_base_PS2_Pi: ; @_ZN9rocsparseL30kernel_count_missing_diagonal2IL20rocsparse_fill_mode_0ELj1024EllEEvT2_PKT1_PKS2_21rocsparse_index_base_PS2_Pi
; %bb.0:
	s_load_b64 s[2:3], s[0:1], 0x0
	s_bfe_u32 s4, ttmp6, 0x4000c
	s_and_b32 s5, ttmp6, 15
	s_add_co_i32 s4, s4, 1
	s_getreg_b32 s6, hwreg(HW_REG_IB_STS2, 6, 4)
	s_mul_i32 s4, ttmp9, s4
	v_mov_b32_e32 v1, 0
	s_add_co_i32 s5, s5, s4
	s_cmp_eq_u32 s6, 0
	s_cselect_b32 s4, ttmp9, s5
	s_mov_b32 s5, 0
	v_lshl_or_b32 v0, s4, 10, v0
	s_wait_kmcnt 0x0
	s_delay_alu instid0(VALU_DEP_1)
	v_cmp_gt_i64_e32 vcc_lo, s[2:3], v[0:1]
	s_and_saveexec_b32 s2, vcc_lo
	s_cbranch_execz .LBB17_8
; %bb.1:
	s_clause 0x1
	s_load_b128 s[8:11], s[0:1], 0x8
	s_load_b32 s4, s[0:1], 0x18
	s_wait_kmcnt 0x0
	v_lshl_add_u64 v[2:3], v[0:1], 3, s[8:9]
	s_not_b64 s[2:3], s[4:5]
	global_load_b64 v[2:3], v[2:3], off offset:8
	s_wait_loadcnt 0x0
	v_lshl_add_u64 v[2:3], v[2:3], 3, s[10:11]
	s_delay_alu instid0(VALU_DEP_1) | instskip(SKIP_3) | instid1(VALU_DEP_1)
	v_lshl_add_u64 v[2:3], s[2:3], 3, v[2:3]
	global_load_b64 v[2:3], v[2:3], off
	s_wait_loadcnt 0x0
	v_sub_nc_u64_e64 v[2:3], v[2:3], s[4:5]
	v_cmp_ne_u64_e32 vcc_lo, v[2:3], v[0:1]
	s_and_b32 exec_lo, exec_lo, vcc_lo
	s_cbranch_execz .LBB17_8
; %bb.2:
	s_load_b128 s[0:3], s[0:1], 0x20
	v_add_nc_u32_e32 v0, s4, v0
	s_mov_b32 s5, exec_lo
	s_brev_b32 s4, -2
.LBB17_3:                               ; =>This Inner Loop Header: Depth=1
	s_ctz_i32_b32 s6, s5
	s_delay_alu instid0(VALU_DEP_1) | instid1(SALU_CYCLE_1)
	v_readlane_b32 s7, v0, s6
	s_lshl_b32 s6, 1, s6
	s_delay_alu instid0(SALU_CYCLE_1)
	s_and_not1_b32 s5, s5, s6
	s_min_i32 s4, s4, s7
	s_cmp_lg_u32 s5, 0
	s_cbranch_scc1 .LBB17_3
; %bb.4:
	v_mbcnt_lo_u32_b32 v0, exec_lo, 0
	s_mov_b32 s5, exec_lo
	s_delay_alu instid0(VALU_DEP_1)
	v_cmpx_eq_u32_e32 0, v0
	s_xor_b32 s5, exec_lo, s5
	s_cbranch_execz .LBB17_6
; %bb.5:
	v_dual_mov_b32 v0, 0 :: v_dual_mov_b32 v1, s4
	s_wait_xcnt 0x0
	s_wait_kmcnt 0x0
	global_atomic_min_i32 v0, v1, s[2:3] scope:SCOPE_DEV
.LBB17_6:
	s_wait_xcnt 0x0
	s_or_b32 exec_lo, exec_lo, s5
	s_wait_kmcnt 0x0
	s_mov_b32 s2, exec_lo
	s_delay_alu instid0(SALU_CYCLE_1) | instskip(NEXT) | instid1(VALU_DEP_1)
	v_mbcnt_lo_u32_b32 v0, s2, 0
	v_cmp_eq_u32_e32 vcc_lo, 0, v0
	s_and_b32 s3, exec_lo, vcc_lo
	s_delay_alu instid0(SALU_CYCLE_1)
	s_mov_b32 exec_lo, s3
	s_cbranch_execz .LBB17_8
; %bb.7:
	s_bcnt1_i32_b32 s2, s2
	s_delay_alu instid0(SALU_CYCLE_1)
	v_dual_mov_b32 v1, 0 :: v_dual_mov_b32 v0, s2
	global_atomic_add_u64 v1, v[0:1], s[0:1] scope:SCOPE_DEV
.LBB17_8:
	s_endpgm
	.section	.rodata,"a",@progbits
	.p2align	6, 0x0
	.amdhsa_kernel _ZN9rocsparseL30kernel_count_missing_diagonal2IL20rocsparse_fill_mode_0ELj1024EllEEvT2_PKT1_PKS2_21rocsparse_index_base_PS2_Pi
		.amdhsa_group_segment_fixed_size 0
		.amdhsa_private_segment_fixed_size 0
		.amdhsa_kernarg_size 48
		.amdhsa_user_sgpr_count 2
		.amdhsa_user_sgpr_dispatch_ptr 0
		.amdhsa_user_sgpr_queue_ptr 0
		.amdhsa_user_sgpr_kernarg_segment_ptr 1
		.amdhsa_user_sgpr_dispatch_id 0
		.amdhsa_user_sgpr_kernarg_preload_length 0
		.amdhsa_user_sgpr_kernarg_preload_offset 0
		.amdhsa_user_sgpr_private_segment_size 0
		.amdhsa_wavefront_size32 1
		.amdhsa_uses_dynamic_stack 0
		.amdhsa_enable_private_segment 0
		.amdhsa_system_sgpr_workgroup_id_x 1
		.amdhsa_system_sgpr_workgroup_id_y 0
		.amdhsa_system_sgpr_workgroup_id_z 0
		.amdhsa_system_sgpr_workgroup_info 0
		.amdhsa_system_vgpr_workitem_id 0
		.amdhsa_next_free_vgpr 4
		.amdhsa_next_free_sgpr 12
		.amdhsa_named_barrier_count 0
		.amdhsa_reserve_vcc 1
		.amdhsa_float_round_mode_32 0
		.amdhsa_float_round_mode_16_64 0
		.amdhsa_float_denorm_mode_32 3
		.amdhsa_float_denorm_mode_16_64 3
		.amdhsa_fp16_overflow 0
		.amdhsa_memory_ordered 1
		.amdhsa_forward_progress 1
		.amdhsa_inst_pref_size 3
		.amdhsa_round_robin_scheduling 0
		.amdhsa_exception_fp_ieee_invalid_op 0
		.amdhsa_exception_fp_denorm_src 0
		.amdhsa_exception_fp_ieee_div_zero 0
		.amdhsa_exception_fp_ieee_overflow 0
		.amdhsa_exception_fp_ieee_underflow 0
		.amdhsa_exception_fp_ieee_inexact 0
		.amdhsa_exception_int_div_zero 0
	.end_amdhsa_kernel
	.section	.text._ZN9rocsparseL30kernel_count_missing_diagonal2IL20rocsparse_fill_mode_0ELj1024EllEEvT2_PKT1_PKS2_21rocsparse_index_base_PS2_Pi,"axG",@progbits,_ZN9rocsparseL30kernel_count_missing_diagonal2IL20rocsparse_fill_mode_0ELj1024EllEEvT2_PKT1_PKS2_21rocsparse_index_base_PS2_Pi,comdat
.Lfunc_end17:
	.size	_ZN9rocsparseL30kernel_count_missing_diagonal2IL20rocsparse_fill_mode_0ELj1024EllEEvT2_PKT1_PKS2_21rocsparse_index_base_PS2_Pi, .Lfunc_end17-_ZN9rocsparseL30kernel_count_missing_diagonal2IL20rocsparse_fill_mode_0ELj1024EllEEvT2_PKT1_PKS2_21rocsparse_index_base_PS2_Pi
                                        ; -- End function
	.set _ZN9rocsparseL30kernel_count_missing_diagonal2IL20rocsparse_fill_mode_0ELj1024EllEEvT2_PKT1_PKS2_21rocsparse_index_base_PS2_Pi.num_vgpr, 4
	.set _ZN9rocsparseL30kernel_count_missing_diagonal2IL20rocsparse_fill_mode_0ELj1024EllEEvT2_PKT1_PKS2_21rocsparse_index_base_PS2_Pi.num_agpr, 0
	.set _ZN9rocsparseL30kernel_count_missing_diagonal2IL20rocsparse_fill_mode_0ELj1024EllEEvT2_PKT1_PKS2_21rocsparse_index_base_PS2_Pi.numbered_sgpr, 12
	.set _ZN9rocsparseL30kernel_count_missing_diagonal2IL20rocsparse_fill_mode_0ELj1024EllEEvT2_PKT1_PKS2_21rocsparse_index_base_PS2_Pi.num_named_barrier, 0
	.set _ZN9rocsparseL30kernel_count_missing_diagonal2IL20rocsparse_fill_mode_0ELj1024EllEEvT2_PKT1_PKS2_21rocsparse_index_base_PS2_Pi.private_seg_size, 0
	.set _ZN9rocsparseL30kernel_count_missing_diagonal2IL20rocsparse_fill_mode_0ELj1024EllEEvT2_PKT1_PKS2_21rocsparse_index_base_PS2_Pi.uses_vcc, 1
	.set _ZN9rocsparseL30kernel_count_missing_diagonal2IL20rocsparse_fill_mode_0ELj1024EllEEvT2_PKT1_PKS2_21rocsparse_index_base_PS2_Pi.uses_flat_scratch, 0
	.set _ZN9rocsparseL30kernel_count_missing_diagonal2IL20rocsparse_fill_mode_0ELj1024EllEEvT2_PKT1_PKS2_21rocsparse_index_base_PS2_Pi.has_dyn_sized_stack, 0
	.set _ZN9rocsparseL30kernel_count_missing_diagonal2IL20rocsparse_fill_mode_0ELj1024EllEEvT2_PKT1_PKS2_21rocsparse_index_base_PS2_Pi.has_recursion, 0
	.set _ZN9rocsparseL30kernel_count_missing_diagonal2IL20rocsparse_fill_mode_0ELj1024EllEEvT2_PKT1_PKS2_21rocsparse_index_base_PS2_Pi.has_indirect_call, 0
	.section	.AMDGPU.csdata,"",@progbits
; Kernel info:
; codeLenInByte = 384
; TotalNumSgprs: 14
; NumVgprs: 4
; ScratchSize: 0
; MemoryBound: 0
; FloatMode: 240
; IeeeMode: 1
; LDSByteSize: 0 bytes/workgroup (compile time only)
; SGPRBlocks: 0
; VGPRBlocks: 0
; NumSGPRsForWavesPerEU: 14
; NumVGPRsForWavesPerEU: 4
; NamedBarCnt: 0
; Occupancy: 16
; WaveLimiterHint : 1
; COMPUTE_PGM_RSRC2:SCRATCH_EN: 0
; COMPUTE_PGM_RSRC2:USER_SGPR: 2
; COMPUTE_PGM_RSRC2:TRAP_HANDLER: 0
; COMPUTE_PGM_RSRC2:TGID_X_EN: 1
; COMPUTE_PGM_RSRC2:TGID_Y_EN: 0
; COMPUTE_PGM_RSRC2:TGID_Z_EN: 0
; COMPUTE_PGM_RSRC2:TIDIG_COMP_CNT: 0
	.section	.text._ZN9rocsparseL30kernel_count_missing_diagonal2IL20rocsparse_fill_mode_1ELj1024EllEEvT2_PKT1_PKS2_21rocsparse_index_base_PS2_Pi,"axG",@progbits,_ZN9rocsparseL30kernel_count_missing_diagonal2IL20rocsparse_fill_mode_1ELj1024EllEEvT2_PKT1_PKS2_21rocsparse_index_base_PS2_Pi,comdat
	.globl	_ZN9rocsparseL30kernel_count_missing_diagonal2IL20rocsparse_fill_mode_1ELj1024EllEEvT2_PKT1_PKS2_21rocsparse_index_base_PS2_Pi ; -- Begin function _ZN9rocsparseL30kernel_count_missing_diagonal2IL20rocsparse_fill_mode_1ELj1024EllEEvT2_PKT1_PKS2_21rocsparse_index_base_PS2_Pi
	.p2align	8
	.type	_ZN9rocsparseL30kernel_count_missing_diagonal2IL20rocsparse_fill_mode_1ELj1024EllEEvT2_PKT1_PKS2_21rocsparse_index_base_PS2_Pi,@function
_ZN9rocsparseL30kernel_count_missing_diagonal2IL20rocsparse_fill_mode_1ELj1024EllEEvT2_PKT1_PKS2_21rocsparse_index_base_PS2_Pi: ; @_ZN9rocsparseL30kernel_count_missing_diagonal2IL20rocsparse_fill_mode_1ELj1024EllEEvT2_PKT1_PKS2_21rocsparse_index_base_PS2_Pi
; %bb.0:
	s_load_b64 s[2:3], s[0:1], 0x0
	s_bfe_u32 s4, ttmp6, 0x4000c
	s_and_b32 s5, ttmp6, 15
	s_add_co_i32 s4, s4, 1
	s_getreg_b32 s6, hwreg(HW_REG_IB_STS2, 6, 4)
	s_mul_i32 s4, ttmp9, s4
	v_mov_b32_e32 v1, 0
	s_add_co_i32 s5, s5, s4
	s_cmp_eq_u32 s6, 0
	s_cselect_b32 s4, ttmp9, s5
	s_mov_b32 s5, 0
	v_lshl_or_b32 v0, s4, 10, v0
	s_wait_kmcnt 0x0
	s_delay_alu instid0(VALU_DEP_1)
	v_cmp_gt_i64_e32 vcc_lo, s[2:3], v[0:1]
	s_and_saveexec_b32 s2, vcc_lo
	s_cbranch_execz .LBB18_8
; %bb.1:
	s_clause 0x1
	s_load_b128 s[8:11], s[0:1], 0x8
	s_load_b32 s4, s[0:1], 0x18
	s_wait_kmcnt 0x0
	v_lshl_add_u64 v[2:3], v[0:1], 3, s[8:9]
	global_load_b64 v[2:3], v[2:3], off
	s_wait_loadcnt 0x0
	v_sub_nc_u64_e64 v[2:3], v[2:3], s[4:5]
	s_delay_alu instid0(VALU_DEP_1) | instskip(SKIP_3) | instid1(VALU_DEP_1)
	v_lshl_add_u64 v[2:3], v[2:3], 3, s[10:11]
	global_load_b64 v[2:3], v[2:3], off
	s_wait_loadcnt 0x0
	v_sub_nc_u64_e64 v[2:3], v[2:3], s[4:5]
	v_cmp_ne_u64_e32 vcc_lo, v[2:3], v[0:1]
	s_and_b32 exec_lo, exec_lo, vcc_lo
	s_cbranch_execz .LBB18_8
; %bb.2:
	s_load_b128 s[0:3], s[0:1], 0x20
	v_add_nc_u32_e32 v0, s4, v0
	s_mov_b32 s5, exec_lo
	s_brev_b32 s4, -2
.LBB18_3:                               ; =>This Inner Loop Header: Depth=1
	s_ctz_i32_b32 s6, s5
	s_delay_alu instid0(VALU_DEP_1) | instid1(SALU_CYCLE_1)
	v_readlane_b32 s7, v0, s6
	s_lshl_b32 s6, 1, s6
	s_delay_alu instid0(SALU_CYCLE_1)
	s_and_not1_b32 s5, s5, s6
	s_min_i32 s4, s4, s7
	s_cmp_lg_u32 s5, 0
	s_cbranch_scc1 .LBB18_3
; %bb.4:
	v_mbcnt_lo_u32_b32 v0, exec_lo, 0
	s_mov_b32 s5, exec_lo
	s_delay_alu instid0(VALU_DEP_1)
	v_cmpx_eq_u32_e32 0, v0
	s_xor_b32 s5, exec_lo, s5
	s_cbranch_execz .LBB18_6
; %bb.5:
	v_dual_mov_b32 v0, 0 :: v_dual_mov_b32 v1, s4
	s_wait_xcnt 0x0
	s_wait_kmcnt 0x0
	global_atomic_min_i32 v0, v1, s[2:3] scope:SCOPE_DEV
.LBB18_6:
	s_wait_xcnt 0x0
	s_or_b32 exec_lo, exec_lo, s5
	s_wait_kmcnt 0x0
	s_mov_b32 s2, exec_lo
	s_delay_alu instid0(SALU_CYCLE_1) | instskip(NEXT) | instid1(VALU_DEP_1)
	v_mbcnt_lo_u32_b32 v0, s2, 0
	v_cmp_eq_u32_e32 vcc_lo, 0, v0
	s_and_b32 s3, exec_lo, vcc_lo
	s_delay_alu instid0(SALU_CYCLE_1)
	s_mov_b32 exec_lo, s3
	s_cbranch_execz .LBB18_8
; %bb.7:
	s_bcnt1_i32_b32 s2, s2
	s_delay_alu instid0(SALU_CYCLE_1)
	v_dual_mov_b32 v1, 0 :: v_dual_mov_b32 v0, s2
	global_atomic_add_u64 v1, v[0:1], s[0:1] scope:SCOPE_DEV
.LBB18_8:
	s_endpgm
	.section	.rodata,"a",@progbits
	.p2align	6, 0x0
	.amdhsa_kernel _ZN9rocsparseL30kernel_count_missing_diagonal2IL20rocsparse_fill_mode_1ELj1024EllEEvT2_PKT1_PKS2_21rocsparse_index_base_PS2_Pi
		.amdhsa_group_segment_fixed_size 0
		.amdhsa_private_segment_fixed_size 0
		.amdhsa_kernarg_size 48
		.amdhsa_user_sgpr_count 2
		.amdhsa_user_sgpr_dispatch_ptr 0
		.amdhsa_user_sgpr_queue_ptr 0
		.amdhsa_user_sgpr_kernarg_segment_ptr 1
		.amdhsa_user_sgpr_dispatch_id 0
		.amdhsa_user_sgpr_kernarg_preload_length 0
		.amdhsa_user_sgpr_kernarg_preload_offset 0
		.amdhsa_user_sgpr_private_segment_size 0
		.amdhsa_wavefront_size32 1
		.amdhsa_uses_dynamic_stack 0
		.amdhsa_enable_private_segment 0
		.amdhsa_system_sgpr_workgroup_id_x 1
		.amdhsa_system_sgpr_workgroup_id_y 0
		.amdhsa_system_sgpr_workgroup_id_z 0
		.amdhsa_system_sgpr_workgroup_info 0
		.amdhsa_system_vgpr_workitem_id 0
		.amdhsa_next_free_vgpr 4
		.amdhsa_next_free_sgpr 12
		.amdhsa_named_barrier_count 0
		.amdhsa_reserve_vcc 1
		.amdhsa_float_round_mode_32 0
		.amdhsa_float_round_mode_16_64 0
		.amdhsa_float_denorm_mode_32 3
		.amdhsa_float_denorm_mode_16_64 3
		.amdhsa_fp16_overflow 0
		.amdhsa_memory_ordered 1
		.amdhsa_forward_progress 1
		.amdhsa_inst_pref_size 3
		.amdhsa_round_robin_scheduling 0
		.amdhsa_exception_fp_ieee_invalid_op 0
		.amdhsa_exception_fp_denorm_src 0
		.amdhsa_exception_fp_ieee_div_zero 0
		.amdhsa_exception_fp_ieee_overflow 0
		.amdhsa_exception_fp_ieee_underflow 0
		.amdhsa_exception_fp_ieee_inexact 0
		.amdhsa_exception_int_div_zero 0
	.end_amdhsa_kernel
	.section	.text._ZN9rocsparseL30kernel_count_missing_diagonal2IL20rocsparse_fill_mode_1ELj1024EllEEvT2_PKT1_PKS2_21rocsparse_index_base_PS2_Pi,"axG",@progbits,_ZN9rocsparseL30kernel_count_missing_diagonal2IL20rocsparse_fill_mode_1ELj1024EllEEvT2_PKT1_PKS2_21rocsparse_index_base_PS2_Pi,comdat
.Lfunc_end18:
	.size	_ZN9rocsparseL30kernel_count_missing_diagonal2IL20rocsparse_fill_mode_1ELj1024EllEEvT2_PKT1_PKS2_21rocsparse_index_base_PS2_Pi, .Lfunc_end18-_ZN9rocsparseL30kernel_count_missing_diagonal2IL20rocsparse_fill_mode_1ELj1024EllEEvT2_PKT1_PKS2_21rocsparse_index_base_PS2_Pi
                                        ; -- End function
	.set _ZN9rocsparseL30kernel_count_missing_diagonal2IL20rocsparse_fill_mode_1ELj1024EllEEvT2_PKT1_PKS2_21rocsparse_index_base_PS2_Pi.num_vgpr, 4
	.set _ZN9rocsparseL30kernel_count_missing_diagonal2IL20rocsparse_fill_mode_1ELj1024EllEEvT2_PKT1_PKS2_21rocsparse_index_base_PS2_Pi.num_agpr, 0
	.set _ZN9rocsparseL30kernel_count_missing_diagonal2IL20rocsparse_fill_mode_1ELj1024EllEEvT2_PKT1_PKS2_21rocsparse_index_base_PS2_Pi.numbered_sgpr, 12
	.set _ZN9rocsparseL30kernel_count_missing_diagonal2IL20rocsparse_fill_mode_1ELj1024EllEEvT2_PKT1_PKS2_21rocsparse_index_base_PS2_Pi.num_named_barrier, 0
	.set _ZN9rocsparseL30kernel_count_missing_diagonal2IL20rocsparse_fill_mode_1ELj1024EllEEvT2_PKT1_PKS2_21rocsparse_index_base_PS2_Pi.private_seg_size, 0
	.set _ZN9rocsparseL30kernel_count_missing_diagonal2IL20rocsparse_fill_mode_1ELj1024EllEEvT2_PKT1_PKS2_21rocsparse_index_base_PS2_Pi.uses_vcc, 1
	.set _ZN9rocsparseL30kernel_count_missing_diagonal2IL20rocsparse_fill_mode_1ELj1024EllEEvT2_PKT1_PKS2_21rocsparse_index_base_PS2_Pi.uses_flat_scratch, 0
	.set _ZN9rocsparseL30kernel_count_missing_diagonal2IL20rocsparse_fill_mode_1ELj1024EllEEvT2_PKT1_PKS2_21rocsparse_index_base_PS2_Pi.has_dyn_sized_stack, 0
	.set _ZN9rocsparseL30kernel_count_missing_diagonal2IL20rocsparse_fill_mode_1ELj1024EllEEvT2_PKT1_PKS2_21rocsparse_index_base_PS2_Pi.has_recursion, 0
	.set _ZN9rocsparseL30kernel_count_missing_diagonal2IL20rocsparse_fill_mode_1ELj1024EllEEvT2_PKT1_PKS2_21rocsparse_index_base_PS2_Pi.has_indirect_call, 0
	.section	.AMDGPU.csdata,"",@progbits
; Kernel info:
; codeLenInByte = 380
; TotalNumSgprs: 14
; NumVgprs: 4
; ScratchSize: 0
; MemoryBound: 0
; FloatMode: 240
; IeeeMode: 1
; LDSByteSize: 0 bytes/workgroup (compile time only)
; SGPRBlocks: 0
; VGPRBlocks: 0
; NumSGPRsForWavesPerEU: 14
; NumVGPRsForWavesPerEU: 4
; NamedBarCnt: 0
; Occupancy: 16
; WaveLimiterHint : 1
; COMPUTE_PGM_RSRC2:SCRATCH_EN: 0
; COMPUTE_PGM_RSRC2:USER_SGPR: 2
; COMPUTE_PGM_RSRC2:TRAP_HANDLER: 0
; COMPUTE_PGM_RSRC2:TGID_X_EN: 1
; COMPUTE_PGM_RSRC2:TGID_Y_EN: 0
; COMPUTE_PGM_RSRC2:TGID_Z_EN: 0
; COMPUTE_PGM_RSRC2:TIDIG_COMP_CNT: 0
	.section	.text._ZN9rocsparseL32kernel_count_diagonal_triangularIL20rocsparse_fill_mode_0ELj1024EllEEvT2_PKT1_PKS2_21rocsparse_index_base_PS2_,"axG",@progbits,_ZN9rocsparseL32kernel_count_diagonal_triangularIL20rocsparse_fill_mode_0ELj1024EllEEvT2_PKT1_PKS2_21rocsparse_index_base_PS2_,comdat
	.globl	_ZN9rocsparseL32kernel_count_diagonal_triangularIL20rocsparse_fill_mode_0ELj1024EllEEvT2_PKT1_PKS2_21rocsparse_index_base_PS2_ ; -- Begin function _ZN9rocsparseL32kernel_count_diagonal_triangularIL20rocsparse_fill_mode_0ELj1024EllEEvT2_PKT1_PKS2_21rocsparse_index_base_PS2_
	.p2align	8
	.type	_ZN9rocsparseL32kernel_count_diagonal_triangularIL20rocsparse_fill_mode_0ELj1024EllEEvT2_PKT1_PKS2_21rocsparse_index_base_PS2_,@function
_ZN9rocsparseL32kernel_count_diagonal_triangularIL20rocsparse_fill_mode_0ELj1024EllEEvT2_PKT1_PKS2_21rocsparse_index_base_PS2_: ; @_ZN9rocsparseL32kernel_count_diagonal_triangularIL20rocsparse_fill_mode_0ELj1024EllEEvT2_PKT1_PKS2_21rocsparse_index_base_PS2_
; %bb.0:
	s_load_b64 s[2:3], s[0:1], 0x0
	s_bfe_u32 s4, ttmp6, 0x4000c
	s_and_b32 s5, ttmp6, 15
	s_add_co_i32 s4, s4, 1
	s_getreg_b32 s6, hwreg(HW_REG_IB_STS2, 6, 4)
	s_mul_i32 s4, ttmp9, s4
	v_mov_b32_e32 v1, 0
	s_add_co_i32 s5, s5, s4
	s_cmp_eq_u32 s6, 0
	s_cselect_b32 s4, ttmp9, s5
	s_delay_alu instid0(SALU_CYCLE_1) | instskip(SKIP_1) | instid1(VALU_DEP_1)
	v_lshl_or_b32 v0, s4, 10, v0
	s_wait_kmcnt 0x0
	v_cmp_gt_i64_e32 vcc_lo, s[2:3], v[0:1]
	s_mov_b32 s3, 0
	s_and_saveexec_b32 s2, vcc_lo
	s_cbranch_execz .LBB19_4
; %bb.1:
	s_clause 0x1
	s_load_b128 s[4:7], s[0:1], 0x8
	s_load_b32 s2, s[0:1], 0x18
	s_wait_kmcnt 0x0
	v_lshl_add_u64 v[2:3], v[0:1], 3, s[4:5]
	s_not_b64 s[4:5], s[2:3]
	global_load_b64 v[2:3], v[2:3], off offset:8
	s_wait_loadcnt 0x0
	v_lshl_add_u64 v[2:3], v[2:3], 3, s[6:7]
	s_delay_alu instid0(VALU_DEP_1) | instskip(SKIP_3) | instid1(VALU_DEP_1)
	v_lshl_add_u64 v[2:3], s[4:5], 3, v[2:3]
	global_load_b64 v[2:3], v[2:3], off
	s_wait_loadcnt 0x0
	v_sub_nc_u64_e64 v[2:3], v[2:3], s[2:3]
	v_cmp_eq_u64_e32 vcc_lo, v[2:3], v[0:1]
	s_and_b32 exec_lo, exec_lo, vcc_lo
	s_cbranch_execz .LBB19_4
; %bb.2:
	s_mov_b32 s2, exec_lo
	s_delay_alu instid0(SALU_CYCLE_1) | instskip(NEXT) | instid1(VALU_DEP_1)
	v_mbcnt_lo_u32_b32 v0, s2, 0
	v_cmp_eq_u32_e32 vcc_lo, 0, v0
	s_and_b32 s3, exec_lo, vcc_lo
	s_delay_alu instid0(SALU_CYCLE_1)
	s_mov_b32 exec_lo, s3
	s_cbranch_execz .LBB19_4
; %bb.3:
	s_load_b64 s[0:1], s[0:1], 0x20
	s_bcnt1_i32_b32 s2, s2
	s_delay_alu instid0(SALU_CYCLE_1)
	v_dual_mov_b32 v1, 0 :: v_dual_mov_b32 v0, s2
	s_wait_xcnt 0x0
	s_wait_kmcnt 0x0
	global_atomic_add_u64 v1, v[0:1], s[0:1] scope:SCOPE_DEV
.LBB19_4:
	s_endpgm
	.section	.rodata,"a",@progbits
	.p2align	6, 0x0
	.amdhsa_kernel _ZN9rocsparseL32kernel_count_diagonal_triangularIL20rocsparse_fill_mode_0ELj1024EllEEvT2_PKT1_PKS2_21rocsparse_index_base_PS2_
		.amdhsa_group_segment_fixed_size 0
		.amdhsa_private_segment_fixed_size 0
		.amdhsa_kernarg_size 40
		.amdhsa_user_sgpr_count 2
		.amdhsa_user_sgpr_dispatch_ptr 0
		.amdhsa_user_sgpr_queue_ptr 0
		.amdhsa_user_sgpr_kernarg_segment_ptr 1
		.amdhsa_user_sgpr_dispatch_id 0
		.amdhsa_user_sgpr_kernarg_preload_length 0
		.amdhsa_user_sgpr_kernarg_preload_offset 0
		.amdhsa_user_sgpr_private_segment_size 0
		.amdhsa_wavefront_size32 1
		.amdhsa_uses_dynamic_stack 0
		.amdhsa_enable_private_segment 0
		.amdhsa_system_sgpr_workgroup_id_x 1
		.amdhsa_system_sgpr_workgroup_id_y 0
		.amdhsa_system_sgpr_workgroup_id_z 0
		.amdhsa_system_sgpr_workgroup_info 0
		.amdhsa_system_vgpr_workitem_id 0
		.amdhsa_next_free_vgpr 4
		.amdhsa_next_free_sgpr 8
		.amdhsa_named_barrier_count 0
		.amdhsa_reserve_vcc 1
		.amdhsa_float_round_mode_32 0
		.amdhsa_float_round_mode_16_64 0
		.amdhsa_float_denorm_mode_32 3
		.amdhsa_float_denorm_mode_16_64 3
		.amdhsa_fp16_overflow 0
		.amdhsa_memory_ordered 1
		.amdhsa_forward_progress 1
		.amdhsa_inst_pref_size 3
		.amdhsa_round_robin_scheduling 0
		.amdhsa_exception_fp_ieee_invalid_op 0
		.amdhsa_exception_fp_denorm_src 0
		.amdhsa_exception_fp_ieee_div_zero 0
		.amdhsa_exception_fp_ieee_overflow 0
		.amdhsa_exception_fp_ieee_underflow 0
		.amdhsa_exception_fp_ieee_inexact 0
		.amdhsa_exception_int_div_zero 0
	.end_amdhsa_kernel
	.section	.text._ZN9rocsparseL32kernel_count_diagonal_triangularIL20rocsparse_fill_mode_0ELj1024EllEEvT2_PKT1_PKS2_21rocsparse_index_base_PS2_,"axG",@progbits,_ZN9rocsparseL32kernel_count_diagonal_triangularIL20rocsparse_fill_mode_0ELj1024EllEEvT2_PKT1_PKS2_21rocsparse_index_base_PS2_,comdat
.Lfunc_end19:
	.size	_ZN9rocsparseL32kernel_count_diagonal_triangularIL20rocsparse_fill_mode_0ELj1024EllEEvT2_PKT1_PKS2_21rocsparse_index_base_PS2_, .Lfunc_end19-_ZN9rocsparseL32kernel_count_diagonal_triangularIL20rocsparse_fill_mode_0ELj1024EllEEvT2_PKT1_PKS2_21rocsparse_index_base_PS2_
                                        ; -- End function
	.set _ZN9rocsparseL32kernel_count_diagonal_triangularIL20rocsparse_fill_mode_0ELj1024EllEEvT2_PKT1_PKS2_21rocsparse_index_base_PS2_.num_vgpr, 4
	.set _ZN9rocsparseL32kernel_count_diagonal_triangularIL20rocsparse_fill_mode_0ELj1024EllEEvT2_PKT1_PKS2_21rocsparse_index_base_PS2_.num_agpr, 0
	.set _ZN9rocsparseL32kernel_count_diagonal_triangularIL20rocsparse_fill_mode_0ELj1024EllEEvT2_PKT1_PKS2_21rocsparse_index_base_PS2_.numbered_sgpr, 8
	.set _ZN9rocsparseL32kernel_count_diagonal_triangularIL20rocsparse_fill_mode_0ELj1024EllEEvT2_PKT1_PKS2_21rocsparse_index_base_PS2_.num_named_barrier, 0
	.set _ZN9rocsparseL32kernel_count_diagonal_triangularIL20rocsparse_fill_mode_0ELj1024EllEEvT2_PKT1_PKS2_21rocsparse_index_base_PS2_.private_seg_size, 0
	.set _ZN9rocsparseL32kernel_count_diagonal_triangularIL20rocsparse_fill_mode_0ELj1024EllEEvT2_PKT1_PKS2_21rocsparse_index_base_PS2_.uses_vcc, 1
	.set _ZN9rocsparseL32kernel_count_diagonal_triangularIL20rocsparse_fill_mode_0ELj1024EllEEvT2_PKT1_PKS2_21rocsparse_index_base_PS2_.uses_flat_scratch, 0
	.set _ZN9rocsparseL32kernel_count_diagonal_triangularIL20rocsparse_fill_mode_0ELj1024EllEEvT2_PKT1_PKS2_21rocsparse_index_base_PS2_.has_dyn_sized_stack, 0
	.set _ZN9rocsparseL32kernel_count_diagonal_triangularIL20rocsparse_fill_mode_0ELj1024EllEEvT2_PKT1_PKS2_21rocsparse_index_base_PS2_.has_recursion, 0
	.set _ZN9rocsparseL32kernel_count_diagonal_triangularIL20rocsparse_fill_mode_0ELj1024EllEEvT2_PKT1_PKS2_21rocsparse_index_base_PS2_.has_indirect_call, 0
	.section	.AMDGPU.csdata,"",@progbits
; Kernel info:
; codeLenInByte = 272
; TotalNumSgprs: 10
; NumVgprs: 4
; ScratchSize: 0
; MemoryBound: 0
; FloatMode: 240
; IeeeMode: 1
; LDSByteSize: 0 bytes/workgroup (compile time only)
; SGPRBlocks: 0
; VGPRBlocks: 0
; NumSGPRsForWavesPerEU: 10
; NumVGPRsForWavesPerEU: 4
; NamedBarCnt: 0
; Occupancy: 16
; WaveLimiterHint : 1
; COMPUTE_PGM_RSRC2:SCRATCH_EN: 0
; COMPUTE_PGM_RSRC2:USER_SGPR: 2
; COMPUTE_PGM_RSRC2:TRAP_HANDLER: 0
; COMPUTE_PGM_RSRC2:TGID_X_EN: 1
; COMPUTE_PGM_RSRC2:TGID_Y_EN: 0
; COMPUTE_PGM_RSRC2:TGID_Z_EN: 0
; COMPUTE_PGM_RSRC2:TIDIG_COMP_CNT: 0
	.section	.text._ZN9rocsparseL32kernel_count_diagonal_triangularIL20rocsparse_fill_mode_1ELj1024EllEEvT2_PKT1_PKS2_21rocsparse_index_base_PS2_,"axG",@progbits,_ZN9rocsparseL32kernel_count_diagonal_triangularIL20rocsparse_fill_mode_1ELj1024EllEEvT2_PKT1_PKS2_21rocsparse_index_base_PS2_,comdat
	.globl	_ZN9rocsparseL32kernel_count_diagonal_triangularIL20rocsparse_fill_mode_1ELj1024EllEEvT2_PKT1_PKS2_21rocsparse_index_base_PS2_ ; -- Begin function _ZN9rocsparseL32kernel_count_diagonal_triangularIL20rocsparse_fill_mode_1ELj1024EllEEvT2_PKT1_PKS2_21rocsparse_index_base_PS2_
	.p2align	8
	.type	_ZN9rocsparseL32kernel_count_diagonal_triangularIL20rocsparse_fill_mode_1ELj1024EllEEvT2_PKT1_PKS2_21rocsparse_index_base_PS2_,@function
_ZN9rocsparseL32kernel_count_diagonal_triangularIL20rocsparse_fill_mode_1ELj1024EllEEvT2_PKT1_PKS2_21rocsparse_index_base_PS2_: ; @_ZN9rocsparseL32kernel_count_diagonal_triangularIL20rocsparse_fill_mode_1ELj1024EllEEvT2_PKT1_PKS2_21rocsparse_index_base_PS2_
; %bb.0:
	s_load_b64 s[2:3], s[0:1], 0x0
	s_bfe_u32 s4, ttmp6, 0x4000c
	s_and_b32 s5, ttmp6, 15
	s_add_co_i32 s4, s4, 1
	s_getreg_b32 s6, hwreg(HW_REG_IB_STS2, 6, 4)
	s_mul_i32 s4, ttmp9, s4
	v_mov_b32_e32 v1, 0
	s_add_co_i32 s5, s5, s4
	s_cmp_eq_u32 s6, 0
	s_cselect_b32 s4, ttmp9, s5
	s_delay_alu instid0(SALU_CYCLE_1) | instskip(SKIP_1) | instid1(VALU_DEP_1)
	v_lshl_or_b32 v0, s4, 10, v0
	s_wait_kmcnt 0x0
	v_cmp_gt_i64_e32 vcc_lo, s[2:3], v[0:1]
	s_mov_b32 s3, 0
	s_and_saveexec_b32 s2, vcc_lo
	s_cbranch_execz .LBB20_4
; %bb.1:
	s_clause 0x1
	s_load_b128 s[4:7], s[0:1], 0x8
	s_load_b32 s2, s[0:1], 0x18
	s_wait_kmcnt 0x0
	v_lshl_add_u64 v[2:3], v[0:1], 3, s[4:5]
	global_load_b64 v[2:3], v[2:3], off
	s_wait_loadcnt 0x0
	v_sub_nc_u64_e64 v[2:3], v[2:3], s[2:3]
	s_delay_alu instid0(VALU_DEP_1) | instskip(SKIP_3) | instid1(VALU_DEP_1)
	v_lshl_add_u64 v[2:3], v[2:3], 3, s[6:7]
	global_load_b64 v[2:3], v[2:3], off
	s_wait_loadcnt 0x0
	v_sub_nc_u64_e64 v[2:3], v[2:3], s[2:3]
	v_cmp_eq_u64_e32 vcc_lo, v[2:3], v[0:1]
	s_and_b32 exec_lo, exec_lo, vcc_lo
	s_cbranch_execz .LBB20_4
; %bb.2:
	s_mov_b32 s2, exec_lo
	s_delay_alu instid0(SALU_CYCLE_1) | instskip(NEXT) | instid1(VALU_DEP_1)
	v_mbcnt_lo_u32_b32 v0, s2, 0
	v_cmp_eq_u32_e32 vcc_lo, 0, v0
	s_and_b32 s3, exec_lo, vcc_lo
	s_delay_alu instid0(SALU_CYCLE_1)
	s_mov_b32 exec_lo, s3
	s_cbranch_execz .LBB20_4
; %bb.3:
	s_load_b64 s[0:1], s[0:1], 0x20
	s_bcnt1_i32_b32 s2, s2
	s_delay_alu instid0(SALU_CYCLE_1)
	v_dual_mov_b32 v1, 0 :: v_dual_mov_b32 v0, s2
	s_wait_xcnt 0x0
	s_wait_kmcnt 0x0
	global_atomic_add_u64 v1, v[0:1], s[0:1] scope:SCOPE_DEV
.LBB20_4:
	s_endpgm
	.section	.rodata,"a",@progbits
	.p2align	6, 0x0
	.amdhsa_kernel _ZN9rocsparseL32kernel_count_diagonal_triangularIL20rocsparse_fill_mode_1ELj1024EllEEvT2_PKT1_PKS2_21rocsparse_index_base_PS2_
		.amdhsa_group_segment_fixed_size 0
		.amdhsa_private_segment_fixed_size 0
		.amdhsa_kernarg_size 40
		.amdhsa_user_sgpr_count 2
		.amdhsa_user_sgpr_dispatch_ptr 0
		.amdhsa_user_sgpr_queue_ptr 0
		.amdhsa_user_sgpr_kernarg_segment_ptr 1
		.amdhsa_user_sgpr_dispatch_id 0
		.amdhsa_user_sgpr_kernarg_preload_length 0
		.amdhsa_user_sgpr_kernarg_preload_offset 0
		.amdhsa_user_sgpr_private_segment_size 0
		.amdhsa_wavefront_size32 1
		.amdhsa_uses_dynamic_stack 0
		.amdhsa_enable_private_segment 0
		.amdhsa_system_sgpr_workgroup_id_x 1
		.amdhsa_system_sgpr_workgroup_id_y 0
		.amdhsa_system_sgpr_workgroup_id_z 0
		.amdhsa_system_sgpr_workgroup_info 0
		.amdhsa_system_vgpr_workitem_id 0
		.amdhsa_next_free_vgpr 4
		.amdhsa_next_free_sgpr 8
		.amdhsa_named_barrier_count 0
		.amdhsa_reserve_vcc 1
		.amdhsa_float_round_mode_32 0
		.amdhsa_float_round_mode_16_64 0
		.amdhsa_float_denorm_mode_32 3
		.amdhsa_float_denorm_mode_16_64 3
		.amdhsa_fp16_overflow 0
		.amdhsa_memory_ordered 1
		.amdhsa_forward_progress 1
		.amdhsa_inst_pref_size 3
		.amdhsa_round_robin_scheduling 0
		.amdhsa_exception_fp_ieee_invalid_op 0
		.amdhsa_exception_fp_denorm_src 0
		.amdhsa_exception_fp_ieee_div_zero 0
		.amdhsa_exception_fp_ieee_overflow 0
		.amdhsa_exception_fp_ieee_underflow 0
		.amdhsa_exception_fp_ieee_inexact 0
		.amdhsa_exception_int_div_zero 0
	.end_amdhsa_kernel
	.section	.text._ZN9rocsparseL32kernel_count_diagonal_triangularIL20rocsparse_fill_mode_1ELj1024EllEEvT2_PKT1_PKS2_21rocsparse_index_base_PS2_,"axG",@progbits,_ZN9rocsparseL32kernel_count_diagonal_triangularIL20rocsparse_fill_mode_1ELj1024EllEEvT2_PKT1_PKS2_21rocsparse_index_base_PS2_,comdat
.Lfunc_end20:
	.size	_ZN9rocsparseL32kernel_count_diagonal_triangularIL20rocsparse_fill_mode_1ELj1024EllEEvT2_PKT1_PKS2_21rocsparse_index_base_PS2_, .Lfunc_end20-_ZN9rocsparseL32kernel_count_diagonal_triangularIL20rocsparse_fill_mode_1ELj1024EllEEvT2_PKT1_PKS2_21rocsparse_index_base_PS2_
                                        ; -- End function
	.set _ZN9rocsparseL32kernel_count_diagonal_triangularIL20rocsparse_fill_mode_1ELj1024EllEEvT2_PKT1_PKS2_21rocsparse_index_base_PS2_.num_vgpr, 4
	.set _ZN9rocsparseL32kernel_count_diagonal_triangularIL20rocsparse_fill_mode_1ELj1024EllEEvT2_PKT1_PKS2_21rocsparse_index_base_PS2_.num_agpr, 0
	.set _ZN9rocsparseL32kernel_count_diagonal_triangularIL20rocsparse_fill_mode_1ELj1024EllEEvT2_PKT1_PKS2_21rocsparse_index_base_PS2_.numbered_sgpr, 8
	.set _ZN9rocsparseL32kernel_count_diagonal_triangularIL20rocsparse_fill_mode_1ELj1024EllEEvT2_PKT1_PKS2_21rocsparse_index_base_PS2_.num_named_barrier, 0
	.set _ZN9rocsparseL32kernel_count_diagonal_triangularIL20rocsparse_fill_mode_1ELj1024EllEEvT2_PKT1_PKS2_21rocsparse_index_base_PS2_.private_seg_size, 0
	.set _ZN9rocsparseL32kernel_count_diagonal_triangularIL20rocsparse_fill_mode_1ELj1024EllEEvT2_PKT1_PKS2_21rocsparse_index_base_PS2_.uses_vcc, 1
	.set _ZN9rocsparseL32kernel_count_diagonal_triangularIL20rocsparse_fill_mode_1ELj1024EllEEvT2_PKT1_PKS2_21rocsparse_index_base_PS2_.uses_flat_scratch, 0
	.set _ZN9rocsparseL32kernel_count_diagonal_triangularIL20rocsparse_fill_mode_1ELj1024EllEEvT2_PKT1_PKS2_21rocsparse_index_base_PS2_.has_dyn_sized_stack, 0
	.set _ZN9rocsparseL32kernel_count_diagonal_triangularIL20rocsparse_fill_mode_1ELj1024EllEEvT2_PKT1_PKS2_21rocsparse_index_base_PS2_.has_recursion, 0
	.set _ZN9rocsparseL32kernel_count_diagonal_triangularIL20rocsparse_fill_mode_1ELj1024EllEEvT2_PKT1_PKS2_21rocsparse_index_base_PS2_.has_indirect_call, 0
	.section	.AMDGPU.csdata,"",@progbits
; Kernel info:
; codeLenInByte = 268
; TotalNumSgprs: 10
; NumVgprs: 4
; ScratchSize: 0
; MemoryBound: 0
; FloatMode: 240
; IeeeMode: 1
; LDSByteSize: 0 bytes/workgroup (compile time only)
; SGPRBlocks: 0
; VGPRBlocks: 0
; NumSGPRsForWavesPerEU: 10
; NumVGPRsForWavesPerEU: 4
; NamedBarCnt: 0
; Occupancy: 16
; WaveLimiterHint : 1
; COMPUTE_PGM_RSRC2:SCRATCH_EN: 0
; COMPUTE_PGM_RSRC2:USER_SGPR: 2
; COMPUTE_PGM_RSRC2:TRAP_HANDLER: 0
; COMPUTE_PGM_RSRC2:TGID_X_EN: 1
; COMPUTE_PGM_RSRC2:TGID_Y_EN: 0
; COMPUTE_PGM_RSRC2:TGID_Z_EN: 0
; COMPUTE_PGM_RSRC2:TIDIG_COMP_CNT: 0
	.section	.AMDGPU.gpr_maximums,"",@progbits
	.set amdgpu.max_num_vgpr, 0
	.set amdgpu.max_num_agpr, 0
	.set amdgpu.max_num_sgpr, 0
	.section	.AMDGPU.csdata,"",@progbits
	.type	__hip_cuid_ec222392167b2e7f,@object ; @__hip_cuid_ec222392167b2e7f
	.section	.bss,"aw",@nobits
	.globl	__hip_cuid_ec222392167b2e7f
__hip_cuid_ec222392167b2e7f:
	.byte	0                               ; 0x0
	.size	__hip_cuid_ec222392167b2e7f, 1

	.ident	"AMD clang version 22.0.0git (https://github.com/RadeonOpenCompute/llvm-project roc-7.2.4 26084 f58b06dce1f9c15707c5f808fd002e18c2accf7e)"
	.section	".note.GNU-stack","",@progbits
	.addrsig
	.addrsig_sym __hip_cuid_ec222392167b2e7f
	.amdgpu_metadata
---
amdhsa.kernels:
  - .args:
      - .offset:         0
        .size:           4
        .value_kind:     by_value
      - .actual_access:  read_only
        .address_space:  global
        .offset:         8
        .size:           8
        .value_kind:     global_buffer
      - .actual_access:  read_only
        .address_space:  global
        .offset:         16
        .size:           8
        .value_kind:     global_buffer
      - .actual_access:  write_only
        .address_space:  global
        .offset:         24
        .size:           8
        .value_kind:     global_buffer
      - .offset:         32
        .size:           4
        .value_kind:     by_value
    .group_segment_fixed_size: 0
    .kernarg_segment_align: 8
    .kernarg_segment_size: 36
    .language:       OpenCL C
    .language_version:
      - 2
      - 0
    .max_flat_workgroup_size: 1024
    .name:           _ZN9rocsparseL19kernel_ptr_end_unitILj1024EiiEEvT1_PKT0_PKS1_PS2_21rocsparse_index_base_
    .private_segment_fixed_size: 0
    .sgpr_count:     10
    .sgpr_spill_count: 0
    .symbol:         _ZN9rocsparseL19kernel_ptr_end_unitILj1024EiiEEvT1_PKT0_PKS1_PS2_21rocsparse_index_base_.kd
    .uniform_work_group_size: 1
    .uses_dynamic_stack: false
    .vgpr_count:     9
    .vgpr_spill_count: 0
    .wavefront_size: 32
  - .args:
      - .offset:         0
        .size:           4
        .value_kind:     by_value
      - .actual_access:  read_only
        .address_space:  global
        .offset:         8
        .size:           8
        .value_kind:     global_buffer
      - .actual_access:  read_only
        .address_space:  global
        .offset:         16
        .size:           8
        .value_kind:     global_buffer
      - .actual_access:  write_only
        .address_space:  global
        .offset:         24
        .size:           8
        .value_kind:     global_buffer
      - .offset:         32
        .size:           4
        .value_kind:     by_value
    .group_segment_fixed_size: 0
    .kernarg_segment_align: 8
    .kernarg_segment_size: 36
    .language:       OpenCL C
    .language_version:
      - 2
      - 0
    .max_flat_workgroup_size: 1024
    .name:           _ZN9rocsparseL23kernel_ptr_end_non_unitILj1024EiiEEvT1_PKT0_PKS1_PS2_21rocsparse_index_base_
    .private_segment_fixed_size: 0
    .sgpr_count:     10
    .sgpr_spill_count: 0
    .symbol:         _ZN9rocsparseL23kernel_ptr_end_non_unitILj1024EiiEEvT1_PKT0_PKS1_PS2_21rocsparse_index_base_.kd
    .uniform_work_group_size: 1
    .uses_dynamic_stack: false
    .vgpr_count:     9
    .vgpr_spill_count: 0
    .wavefront_size: 32
  - .args:
      - .offset:         0
        .size:           4
        .value_kind:     by_value
      - .actual_access:  read_only
        .address_space:  global
        .offset:         8
        .size:           8
        .value_kind:     global_buffer
      - .offset:         16
        .size:           4
        .value_kind:     by_value
      - .actual_access:  read_only
        .address_space:  global
        .offset:         24
        .size:           8
        .value_kind:     global_buffer
      - .offset:         32
        .size:           4
        .value_kind:     by_value
      - .address_space:  global
        .offset:         40
        .size:           8
        .value_kind:     global_buffer
      - .address_space:  global
        .offset:         48
        .size:           8
        .value_kind:     global_buffer
    .group_segment_fixed_size: 0
    .kernarg_segment_align: 8
    .kernarg_segment_size: 56
    .language:       OpenCL C
    .language_version:
      - 2
      - 0
    .max_flat_workgroup_size: 1024
    .name:           _ZN9rocsparseL29kernel_count_missing_diagonalILj1024EiiEEvT1_PKT0_S1_PKS1_21rocsparse_index_base_PS1_Pi
    .private_segment_fixed_size: 0
    .sgpr_count:     13
    .sgpr_spill_count: 0
    .symbol:         _ZN9rocsparseL29kernel_count_missing_diagonalILj1024EiiEEvT1_PKT0_S1_PKS1_21rocsparse_index_base_PS1_Pi.kd
    .uniform_work_group_size: 1
    .uses_dynamic_stack: false
    .vgpr_count:     2
    .vgpr_spill_count: 0
    .wavefront_size: 32
  - .args:
      - .offset:         0
        .size:           4
        .value_kind:     by_value
      - .actual_access:  read_only
        .address_space:  global
        .offset:         8
        .size:           8
        .value_kind:     global_buffer
      - .actual_access:  read_only
        .address_space:  global
        .offset:         16
        .size:           8
        .value_kind:     global_buffer
      - .offset:         24
        .size:           4
        .value_kind:     by_value
      - .address_space:  global
        .offset:         32
        .size:           8
        .value_kind:     global_buffer
      - .address_space:  global
        .offset:         40
        .size:           8
        .value_kind:     global_buffer
    .group_segment_fixed_size: 0
    .kernarg_segment_align: 8
    .kernarg_segment_size: 48
    .language:       OpenCL C
    .language_version:
      - 2
      - 0
    .max_flat_workgroup_size: 1024
    .name:           _ZN9rocsparseL30kernel_count_missing_diagonal2IL20rocsparse_fill_mode_0ELj1024EiiEEvT2_PKT1_PKS2_21rocsparse_index_base_PS2_Pi
    .private_segment_fixed_size: 0
    .sgpr_count:     14
    .sgpr_spill_count: 0
    .symbol:         _ZN9rocsparseL30kernel_count_missing_diagonal2IL20rocsparse_fill_mode_0ELj1024EiiEEvT2_PKT1_PKS2_21rocsparse_index_base_PS2_Pi.kd
    .uniform_work_group_size: 1
    .uses_dynamic_stack: false
    .vgpr_count:     2
    .vgpr_spill_count: 0
    .wavefront_size: 32
  - .args:
      - .offset:         0
        .size:           4
        .value_kind:     by_value
      - .actual_access:  read_only
        .address_space:  global
        .offset:         8
        .size:           8
        .value_kind:     global_buffer
      - .actual_access:  read_only
        .address_space:  global
        .offset:         16
        .size:           8
        .value_kind:     global_buffer
      - .offset:         24
        .size:           4
        .value_kind:     by_value
      - .address_space:  global
        .offset:         32
        .size:           8
        .value_kind:     global_buffer
      - .address_space:  global
        .offset:         40
        .size:           8
        .value_kind:     global_buffer
    .group_segment_fixed_size: 0
    .kernarg_segment_align: 8
    .kernarg_segment_size: 48
    .language:       OpenCL C
    .language_version:
      - 2
      - 0
    .max_flat_workgroup_size: 1024
    .name:           _ZN9rocsparseL30kernel_count_missing_diagonal2IL20rocsparse_fill_mode_1ELj1024EiiEEvT2_PKT1_PKS2_21rocsparse_index_base_PS2_Pi
    .private_segment_fixed_size: 0
    .sgpr_count:     14
    .sgpr_spill_count: 0
    .symbol:         _ZN9rocsparseL30kernel_count_missing_diagonal2IL20rocsparse_fill_mode_1ELj1024EiiEEvT2_PKT1_PKS2_21rocsparse_index_base_PS2_Pi.kd
    .uniform_work_group_size: 1
    .uses_dynamic_stack: false
    .vgpr_count:     2
    .vgpr_spill_count: 0
    .wavefront_size: 32
  - .args:
      - .offset:         0
        .size:           4
        .value_kind:     by_value
      - .actual_access:  read_only
        .address_space:  global
        .offset:         8
        .size:           8
        .value_kind:     global_buffer
      - .actual_access:  read_only
        .address_space:  global
        .offset:         16
        .size:           8
        .value_kind:     global_buffer
      - .offset:         24
        .size:           4
        .value_kind:     by_value
      - .address_space:  global
        .offset:         32
        .size:           8
        .value_kind:     global_buffer
    .group_segment_fixed_size: 0
    .kernarg_segment_align: 8
    .kernarg_segment_size: 40
    .language:       OpenCL C
    .language_version:
      - 2
      - 0
    .max_flat_workgroup_size: 1024
    .name:           _ZN9rocsparseL32kernel_count_diagonal_triangularIL20rocsparse_fill_mode_0ELj1024EiiEEvT2_PKT1_PKS2_21rocsparse_index_base_PS2_
    .private_segment_fixed_size: 0
    .sgpr_count:     10
    .sgpr_spill_count: 0
    .symbol:         _ZN9rocsparseL32kernel_count_diagonal_triangularIL20rocsparse_fill_mode_0ELj1024EiiEEvT2_PKT1_PKS2_21rocsparse_index_base_PS2_.kd
    .uniform_work_group_size: 1
    .uses_dynamic_stack: false
    .vgpr_count:     2
    .vgpr_spill_count: 0
    .wavefront_size: 32
  - .args:
      - .offset:         0
        .size:           4
        .value_kind:     by_value
      - .actual_access:  read_only
        .address_space:  global
        .offset:         8
        .size:           8
        .value_kind:     global_buffer
      - .actual_access:  read_only
        .address_space:  global
        .offset:         16
        .size:           8
        .value_kind:     global_buffer
      - .offset:         24
        .size:           4
        .value_kind:     by_value
      - .address_space:  global
        .offset:         32
        .size:           8
        .value_kind:     global_buffer
    .group_segment_fixed_size: 0
    .kernarg_segment_align: 8
    .kernarg_segment_size: 40
    .language:       OpenCL C
    .language_version:
      - 2
      - 0
    .max_flat_workgroup_size: 1024
    .name:           _ZN9rocsparseL32kernel_count_diagonal_triangularIL20rocsparse_fill_mode_1ELj1024EiiEEvT2_PKT1_PKS2_21rocsparse_index_base_PS2_
    .private_segment_fixed_size: 0
    .sgpr_count:     10
    .sgpr_spill_count: 0
    .symbol:         _ZN9rocsparseL32kernel_count_diagonal_triangularIL20rocsparse_fill_mode_1ELj1024EiiEEvT2_PKT1_PKS2_21rocsparse_index_base_PS2_.kd
    .uniform_work_group_size: 1
    .uses_dynamic_stack: false
    .vgpr_count:     2
    .vgpr_spill_count: 0
    .wavefront_size: 32
  - .args:
      - .offset:         0
        .size:           4
        .value_kind:     by_value
      - .actual_access:  read_only
        .address_space:  global
        .offset:         8
        .size:           8
        .value_kind:     global_buffer
      - .actual_access:  read_only
        .address_space:  global
        .offset:         16
        .size:           8
        .value_kind:     global_buffer
      - .actual_access:  write_only
        .address_space:  global
        .offset:         24
        .size:           8
        .value_kind:     global_buffer
      - .offset:         32
        .size:           4
        .value_kind:     by_value
    .group_segment_fixed_size: 0
    .kernarg_segment_align: 8
    .kernarg_segment_size: 36
    .language:       OpenCL C
    .language_version:
      - 2
      - 0
    .max_flat_workgroup_size: 1024
    .name:           _ZN9rocsparseL19kernel_ptr_end_unitILj1024EliEEvT1_PKT0_PKS1_PS2_21rocsparse_index_base_
    .private_segment_fixed_size: 0
    .sgpr_count:     10
    .sgpr_spill_count: 0
    .symbol:         _ZN9rocsparseL19kernel_ptr_end_unitILj1024EliEEvT1_PKT0_PKS1_PS2_21rocsparse_index_base_.kd
    .uniform_work_group_size: 1
    .uses_dynamic_stack: false
    .vgpr_count:     12
    .vgpr_spill_count: 0
    .wavefront_size: 32
  - .args:
      - .offset:         0
        .size:           4
        .value_kind:     by_value
      - .actual_access:  read_only
        .address_space:  global
        .offset:         8
        .size:           8
        .value_kind:     global_buffer
      - .actual_access:  read_only
        .address_space:  global
        .offset:         16
        .size:           8
        .value_kind:     global_buffer
      - .actual_access:  write_only
        .address_space:  global
        .offset:         24
        .size:           8
        .value_kind:     global_buffer
      - .offset:         32
        .size:           4
        .value_kind:     by_value
    .group_segment_fixed_size: 0
    .kernarg_segment_align: 8
    .kernarg_segment_size: 36
    .language:       OpenCL C
    .language_version:
      - 2
      - 0
    .max_flat_workgroup_size: 1024
    .name:           _ZN9rocsparseL23kernel_ptr_end_non_unitILj1024EliEEvT1_PKT0_PKS1_PS2_21rocsparse_index_base_
    .private_segment_fixed_size: 0
    .sgpr_count:     10
    .sgpr_spill_count: 0
    .symbol:         _ZN9rocsparseL23kernel_ptr_end_non_unitILj1024EliEEvT1_PKT0_PKS1_PS2_21rocsparse_index_base_.kd
    .uniform_work_group_size: 1
    .uses_dynamic_stack: false
    .vgpr_count:     12
    .vgpr_spill_count: 0
    .wavefront_size: 32
  - .args:
      - .offset:         0
        .size:           4
        .value_kind:     by_value
      - .actual_access:  read_only
        .address_space:  global
        .offset:         8
        .size:           8
        .value_kind:     global_buffer
      - .offset:         16
        .size:           4
        .value_kind:     by_value
      - .actual_access:  read_only
        .address_space:  global
        .offset:         24
        .size:           8
        .value_kind:     global_buffer
      - .offset:         32
        .size:           4
        .value_kind:     by_value
      - .address_space:  global
        .offset:         40
        .size:           8
        .value_kind:     global_buffer
      - .address_space:  global
        .offset:         48
        .size:           8
        .value_kind:     global_buffer
    .group_segment_fixed_size: 0
    .kernarg_segment_align: 8
    .kernarg_segment_size: 56
    .language:       OpenCL C
    .language_version:
      - 2
      - 0
    .max_flat_workgroup_size: 1024
    .name:           _ZN9rocsparseL29kernel_count_missing_diagonalILj1024EliEEvT1_PKT0_S1_PKS1_21rocsparse_index_base_PS1_Pi
    .private_segment_fixed_size: 0
    .sgpr_count:     13
    .sgpr_spill_count: 0
    .symbol:         _ZN9rocsparseL29kernel_count_missing_diagonalILj1024EliEEvT1_PKT0_S1_PKS1_21rocsparse_index_base_PS1_Pi.kd
    .uniform_work_group_size: 1
    .uses_dynamic_stack: false
    .vgpr_count:     4
    .vgpr_spill_count: 0
    .wavefront_size: 32
  - .args:
      - .offset:         0
        .size:           4
        .value_kind:     by_value
      - .actual_access:  read_only
        .address_space:  global
        .offset:         8
        .size:           8
        .value_kind:     global_buffer
      - .actual_access:  read_only
        .address_space:  global
        .offset:         16
        .size:           8
        .value_kind:     global_buffer
      - .offset:         24
        .size:           4
        .value_kind:     by_value
      - .address_space:  global
        .offset:         32
        .size:           8
        .value_kind:     global_buffer
      - .address_space:  global
        .offset:         40
        .size:           8
        .value_kind:     global_buffer
    .group_segment_fixed_size: 0
    .kernarg_segment_align: 8
    .kernarg_segment_size: 48
    .language:       OpenCL C
    .language_version:
      - 2
      - 0
    .max_flat_workgroup_size: 1024
    .name:           _ZN9rocsparseL30kernel_count_missing_diagonal2IL20rocsparse_fill_mode_0ELj1024EliEEvT2_PKT1_PKS2_21rocsparse_index_base_PS2_Pi
    .private_segment_fixed_size: 0
    .sgpr_count:     14
    .sgpr_spill_count: 0
    .symbol:         _ZN9rocsparseL30kernel_count_missing_diagonal2IL20rocsparse_fill_mode_0ELj1024EliEEvT2_PKT1_PKS2_21rocsparse_index_base_PS2_Pi.kd
    .uniform_work_group_size: 1
    .uses_dynamic_stack: false
    .vgpr_count:     4
    .vgpr_spill_count: 0
    .wavefront_size: 32
  - .args:
      - .offset:         0
        .size:           4
        .value_kind:     by_value
      - .actual_access:  read_only
        .address_space:  global
        .offset:         8
        .size:           8
        .value_kind:     global_buffer
      - .actual_access:  read_only
        .address_space:  global
        .offset:         16
        .size:           8
        .value_kind:     global_buffer
      - .offset:         24
        .size:           4
        .value_kind:     by_value
      - .address_space:  global
        .offset:         32
        .size:           8
        .value_kind:     global_buffer
      - .address_space:  global
        .offset:         40
        .size:           8
        .value_kind:     global_buffer
    .group_segment_fixed_size: 0
    .kernarg_segment_align: 8
    .kernarg_segment_size: 48
    .language:       OpenCL C
    .language_version:
      - 2
      - 0
    .max_flat_workgroup_size: 1024
    .name:           _ZN9rocsparseL30kernel_count_missing_diagonal2IL20rocsparse_fill_mode_1ELj1024EliEEvT2_PKT1_PKS2_21rocsparse_index_base_PS2_Pi
    .private_segment_fixed_size: 0
    .sgpr_count:     14
    .sgpr_spill_count: 0
    .symbol:         _ZN9rocsparseL30kernel_count_missing_diagonal2IL20rocsparse_fill_mode_1ELj1024EliEEvT2_PKT1_PKS2_21rocsparse_index_base_PS2_Pi.kd
    .uniform_work_group_size: 1
    .uses_dynamic_stack: false
    .vgpr_count:     4
    .vgpr_spill_count: 0
    .wavefront_size: 32
  - .args:
      - .offset:         0
        .size:           4
        .value_kind:     by_value
      - .actual_access:  read_only
        .address_space:  global
        .offset:         8
        .size:           8
        .value_kind:     global_buffer
      - .actual_access:  read_only
        .address_space:  global
        .offset:         16
        .size:           8
        .value_kind:     global_buffer
      - .offset:         24
        .size:           4
        .value_kind:     by_value
      - .address_space:  global
        .offset:         32
        .size:           8
        .value_kind:     global_buffer
    .group_segment_fixed_size: 0
    .kernarg_segment_align: 8
    .kernarg_segment_size: 40
    .language:       OpenCL C
    .language_version:
      - 2
      - 0
    .max_flat_workgroup_size: 1024
    .name:           _ZN9rocsparseL32kernel_count_diagonal_triangularIL20rocsparse_fill_mode_0ELj1024EliEEvT2_PKT1_PKS2_21rocsparse_index_base_PS2_
    .private_segment_fixed_size: 0
    .sgpr_count:     10
    .sgpr_spill_count: 0
    .symbol:         _ZN9rocsparseL32kernel_count_diagonal_triangularIL20rocsparse_fill_mode_0ELj1024EliEEvT2_PKT1_PKS2_21rocsparse_index_base_PS2_.kd
    .uniform_work_group_size: 1
    .uses_dynamic_stack: false
    .vgpr_count:     4
    .vgpr_spill_count: 0
    .wavefront_size: 32
  - .args:
      - .offset:         0
        .size:           4
        .value_kind:     by_value
      - .actual_access:  read_only
        .address_space:  global
        .offset:         8
        .size:           8
        .value_kind:     global_buffer
      - .actual_access:  read_only
        .address_space:  global
        .offset:         16
        .size:           8
        .value_kind:     global_buffer
      - .offset:         24
        .size:           4
        .value_kind:     by_value
      - .address_space:  global
        .offset:         32
        .size:           8
        .value_kind:     global_buffer
    .group_segment_fixed_size: 0
    .kernarg_segment_align: 8
    .kernarg_segment_size: 40
    .language:       OpenCL C
    .language_version:
      - 2
      - 0
    .max_flat_workgroup_size: 1024
    .name:           _ZN9rocsparseL32kernel_count_diagonal_triangularIL20rocsparse_fill_mode_1ELj1024EliEEvT2_PKT1_PKS2_21rocsparse_index_base_PS2_
    .private_segment_fixed_size: 0
    .sgpr_count:     10
    .sgpr_spill_count: 0
    .symbol:         _ZN9rocsparseL32kernel_count_diagonal_triangularIL20rocsparse_fill_mode_1ELj1024EliEEvT2_PKT1_PKS2_21rocsparse_index_base_PS2_.kd
    .uniform_work_group_size: 1
    .uses_dynamic_stack: false
    .vgpr_count:     4
    .vgpr_spill_count: 0
    .wavefront_size: 32
  - .args:
      - .offset:         0
        .size:           8
        .value_kind:     by_value
      - .actual_access:  read_only
        .address_space:  global
        .offset:         8
        .size:           8
        .value_kind:     global_buffer
      - .actual_access:  read_only
        .address_space:  global
        .offset:         16
        .size:           8
        .value_kind:     global_buffer
      - .actual_access:  write_only
        .address_space:  global
        .offset:         24
        .size:           8
        .value_kind:     global_buffer
      - .offset:         32
        .size:           4
        .value_kind:     by_value
    .group_segment_fixed_size: 0
    .kernarg_segment_align: 8
    .kernarg_segment_size: 36
    .language:       OpenCL C
    .language_version:
      - 2
      - 0
    .max_flat_workgroup_size: 1024
    .name:           _ZN9rocsparseL19kernel_ptr_end_unitILj1024EllEEvT1_PKT0_PKS1_PS2_21rocsparse_index_base_
    .private_segment_fixed_size: 0
    .sgpr_count:     10
    .sgpr_spill_count: 0
    .symbol:         _ZN9rocsparseL19kernel_ptr_end_unitILj1024EllEEvT1_PKT0_PKS1_PS2_21rocsparse_index_base_.kd
    .uniform_work_group_size: 1
    .uses_dynamic_stack: false
    .vgpr_count:     12
    .vgpr_spill_count: 0
    .wavefront_size: 32
  - .args:
      - .offset:         0
        .size:           8
        .value_kind:     by_value
      - .actual_access:  read_only
        .address_space:  global
        .offset:         8
        .size:           8
        .value_kind:     global_buffer
      - .actual_access:  read_only
        .address_space:  global
        .offset:         16
        .size:           8
        .value_kind:     global_buffer
      - .actual_access:  write_only
        .address_space:  global
        .offset:         24
        .size:           8
        .value_kind:     global_buffer
      - .offset:         32
        .size:           4
        .value_kind:     by_value
    .group_segment_fixed_size: 0
    .kernarg_segment_align: 8
    .kernarg_segment_size: 36
    .language:       OpenCL C
    .language_version:
      - 2
      - 0
    .max_flat_workgroup_size: 1024
    .name:           _ZN9rocsparseL23kernel_ptr_end_non_unitILj1024EllEEvT1_PKT0_PKS1_PS2_21rocsparse_index_base_
    .private_segment_fixed_size: 0
    .sgpr_count:     10
    .sgpr_spill_count: 0
    .symbol:         _ZN9rocsparseL23kernel_ptr_end_non_unitILj1024EllEEvT1_PKT0_PKS1_PS2_21rocsparse_index_base_.kd
    .uniform_work_group_size: 1
    .uses_dynamic_stack: false
    .vgpr_count:     12
    .vgpr_spill_count: 0
    .wavefront_size: 32
  - .args:
      - .offset:         0
        .size:           8
        .value_kind:     by_value
      - .actual_access:  read_only
        .address_space:  global
        .offset:         8
        .size:           8
        .value_kind:     global_buffer
      - .offset:         16
        .size:           8
        .value_kind:     by_value
      - .actual_access:  read_only
        .address_space:  global
        .offset:         24
        .size:           8
        .value_kind:     global_buffer
      - .offset:         32
        .size:           4
        .value_kind:     by_value
      - .address_space:  global
        .offset:         40
        .size:           8
        .value_kind:     global_buffer
      - .address_space:  global
        .offset:         48
        .size:           8
        .value_kind:     global_buffer
    .group_segment_fixed_size: 0
    .kernarg_segment_align: 8
    .kernarg_segment_size: 56
    .language:       OpenCL C
    .language_version:
      - 2
      - 0
    .max_flat_workgroup_size: 1024
    .name:           _ZN9rocsparseL29kernel_count_missing_diagonalILj1024EllEEvT1_PKT0_S1_PKS1_21rocsparse_index_base_PS1_Pi
    .private_segment_fixed_size: 0
    .sgpr_count:     13
    .sgpr_spill_count: 0
    .symbol:         _ZN9rocsparseL29kernel_count_missing_diagonalILj1024EllEEvT1_PKT0_S1_PKS1_21rocsparse_index_base_PS1_Pi.kd
    .uniform_work_group_size: 1
    .uses_dynamic_stack: false
    .vgpr_count:     4
    .vgpr_spill_count: 0
    .wavefront_size: 32
  - .args:
      - .offset:         0
        .size:           8
        .value_kind:     by_value
      - .actual_access:  read_only
        .address_space:  global
        .offset:         8
        .size:           8
        .value_kind:     global_buffer
      - .actual_access:  read_only
        .address_space:  global
        .offset:         16
        .size:           8
        .value_kind:     global_buffer
      - .offset:         24
        .size:           4
        .value_kind:     by_value
      - .address_space:  global
        .offset:         32
        .size:           8
        .value_kind:     global_buffer
      - .address_space:  global
        .offset:         40
        .size:           8
        .value_kind:     global_buffer
    .group_segment_fixed_size: 0
    .kernarg_segment_align: 8
    .kernarg_segment_size: 48
    .language:       OpenCL C
    .language_version:
      - 2
      - 0
    .max_flat_workgroup_size: 1024
    .name:           _ZN9rocsparseL30kernel_count_missing_diagonal2IL20rocsparse_fill_mode_0ELj1024EllEEvT2_PKT1_PKS2_21rocsparse_index_base_PS2_Pi
    .private_segment_fixed_size: 0
    .sgpr_count:     14
    .sgpr_spill_count: 0
    .symbol:         _ZN9rocsparseL30kernel_count_missing_diagonal2IL20rocsparse_fill_mode_0ELj1024EllEEvT2_PKT1_PKS2_21rocsparse_index_base_PS2_Pi.kd
    .uniform_work_group_size: 1
    .uses_dynamic_stack: false
    .vgpr_count:     4
    .vgpr_spill_count: 0
    .wavefront_size: 32
  - .args:
      - .offset:         0
        .size:           8
        .value_kind:     by_value
      - .actual_access:  read_only
        .address_space:  global
        .offset:         8
        .size:           8
        .value_kind:     global_buffer
      - .actual_access:  read_only
        .address_space:  global
        .offset:         16
        .size:           8
        .value_kind:     global_buffer
      - .offset:         24
        .size:           4
        .value_kind:     by_value
      - .address_space:  global
        .offset:         32
        .size:           8
        .value_kind:     global_buffer
      - .address_space:  global
        .offset:         40
        .size:           8
        .value_kind:     global_buffer
    .group_segment_fixed_size: 0
    .kernarg_segment_align: 8
    .kernarg_segment_size: 48
    .language:       OpenCL C
    .language_version:
      - 2
      - 0
    .max_flat_workgroup_size: 1024
    .name:           _ZN9rocsparseL30kernel_count_missing_diagonal2IL20rocsparse_fill_mode_1ELj1024EllEEvT2_PKT1_PKS2_21rocsparse_index_base_PS2_Pi
    .private_segment_fixed_size: 0
    .sgpr_count:     14
    .sgpr_spill_count: 0
    .symbol:         _ZN9rocsparseL30kernel_count_missing_diagonal2IL20rocsparse_fill_mode_1ELj1024EllEEvT2_PKT1_PKS2_21rocsparse_index_base_PS2_Pi.kd
    .uniform_work_group_size: 1
    .uses_dynamic_stack: false
    .vgpr_count:     4
    .vgpr_spill_count: 0
    .wavefront_size: 32
  - .args:
      - .offset:         0
        .size:           8
        .value_kind:     by_value
      - .actual_access:  read_only
        .address_space:  global
        .offset:         8
        .size:           8
        .value_kind:     global_buffer
      - .actual_access:  read_only
        .address_space:  global
        .offset:         16
        .size:           8
        .value_kind:     global_buffer
      - .offset:         24
        .size:           4
        .value_kind:     by_value
      - .address_space:  global
        .offset:         32
        .size:           8
        .value_kind:     global_buffer
    .group_segment_fixed_size: 0
    .kernarg_segment_align: 8
    .kernarg_segment_size: 40
    .language:       OpenCL C
    .language_version:
      - 2
      - 0
    .max_flat_workgroup_size: 1024
    .name:           _ZN9rocsparseL32kernel_count_diagonal_triangularIL20rocsparse_fill_mode_0ELj1024EllEEvT2_PKT1_PKS2_21rocsparse_index_base_PS2_
    .private_segment_fixed_size: 0
    .sgpr_count:     10
    .sgpr_spill_count: 0
    .symbol:         _ZN9rocsparseL32kernel_count_diagonal_triangularIL20rocsparse_fill_mode_0ELj1024EllEEvT2_PKT1_PKS2_21rocsparse_index_base_PS2_.kd
    .uniform_work_group_size: 1
    .uses_dynamic_stack: false
    .vgpr_count:     4
    .vgpr_spill_count: 0
    .wavefront_size: 32
  - .args:
      - .offset:         0
        .size:           8
        .value_kind:     by_value
      - .actual_access:  read_only
        .address_space:  global
        .offset:         8
        .size:           8
        .value_kind:     global_buffer
      - .actual_access:  read_only
        .address_space:  global
        .offset:         16
        .size:           8
        .value_kind:     global_buffer
      - .offset:         24
        .size:           4
        .value_kind:     by_value
      - .address_space:  global
        .offset:         32
        .size:           8
        .value_kind:     global_buffer
    .group_segment_fixed_size: 0
    .kernarg_segment_align: 8
    .kernarg_segment_size: 40
    .language:       OpenCL C
    .language_version:
      - 2
      - 0
    .max_flat_workgroup_size: 1024
    .name:           _ZN9rocsparseL32kernel_count_diagonal_triangularIL20rocsparse_fill_mode_1ELj1024EllEEvT2_PKT1_PKS2_21rocsparse_index_base_PS2_
    .private_segment_fixed_size: 0
    .sgpr_count:     10
    .sgpr_spill_count: 0
    .symbol:         _ZN9rocsparseL32kernel_count_diagonal_triangularIL20rocsparse_fill_mode_1ELj1024EllEEvT2_PKT1_PKS2_21rocsparse_index_base_PS2_.kd
    .uniform_work_group_size: 1
    .uses_dynamic_stack: false
    .vgpr_count:     4
    .vgpr_spill_count: 0
    .wavefront_size: 32
amdhsa.target:   amdgcn-amd-amdhsa--gfx1250
amdhsa.version:
  - 1
  - 2
...

	.end_amdgpu_metadata
